;; amdgpu-corpus repo=ROCm/rocFFT kind=compiled arch=gfx1201 opt=O3
	.text
	.amdgcn_target "amdgcn-amd-amdhsa--gfx1201"
	.amdhsa_code_object_version 6
	.protected	fft_rtc_fwd_len1496_factors_17_8_11_wgs_187_tpt_187_halfLds_half_op_CI_CI_unitstride_sbrr_R2C_dirReg ; -- Begin function fft_rtc_fwd_len1496_factors_17_8_11_wgs_187_tpt_187_halfLds_half_op_CI_CI_unitstride_sbrr_R2C_dirReg
	.globl	fft_rtc_fwd_len1496_factors_17_8_11_wgs_187_tpt_187_halfLds_half_op_CI_CI_unitstride_sbrr_R2C_dirReg
	.p2align	8
	.type	fft_rtc_fwd_len1496_factors_17_8_11_wgs_187_tpt_187_halfLds_half_op_CI_CI_unitstride_sbrr_R2C_dirReg,@function
fft_rtc_fwd_len1496_factors_17_8_11_wgs_187_tpt_187_halfLds_half_op_CI_CI_unitstride_sbrr_R2C_dirReg: ; @fft_rtc_fwd_len1496_factors_17_8_11_wgs_187_tpt_187_halfLds_half_op_CI_CI_unitstride_sbrr_R2C_dirReg
; %bb.0:
	s_clause 0x2
	s_load_b128 s[8:11], s[0:1], 0x0
	s_load_b128 s[4:7], s[0:1], 0x58
	;; [unrolled: 1-line block ×3, first 2 shown]
	v_mul_u32_u24_e32 v1, 0x15f, v0
	v_mov_b32_e32 v6, 0
	s_delay_alu instid0(VALU_DEP_2) | instskip(NEXT) | instid1(VALU_DEP_1)
	v_lshrrev_b32_e32 v1, 16, v1
	v_dual_mov_b32 v1, 0 :: v_dual_add_nc_u32 v10, ttmp9, v1
	s_delay_alu instid0(VALU_DEP_3) | instskip(SKIP_2) | instid1(VALU_DEP_1)
	v_dual_mov_b32 v11, v6 :: v_dual_mov_b32 v2, 0
	s_wait_kmcnt 0x0
	v_cmp_lt_u64_e64 s2, s[10:11], 2
	s_and_b32 vcc_lo, exec_lo, s2
	s_cbranch_vccnz .LBB0_8
; %bb.1:
	s_load_b64 s[2:3], s[0:1], 0x10
	v_mov_b32_e32 v1, 0
	v_mov_b32_e32 v2, 0
	s_add_nc_u64 s[16:17], s[14:15], 8
	s_add_nc_u64 s[18:19], s[12:13], 8
	s_mov_b64 s[20:21], 1
	s_delay_alu instid0(VALU_DEP_1)
	v_dual_mov_b32 v5, v2 :: v_dual_mov_b32 v4, v1
	s_wait_kmcnt 0x0
	s_add_nc_u64 s[22:23], s[2:3], 8
	s_mov_b32 s3, 0
.LBB0_2:                                ; =>This Inner Loop Header: Depth=1
	s_load_b64 s[24:25], s[22:23], 0x0
                                        ; implicit-def: $vgpr8_vgpr9
	s_mov_b32 s2, exec_lo
	s_wait_kmcnt 0x0
	v_or_b32_e32 v7, s25, v11
	s_delay_alu instid0(VALU_DEP_1)
	v_cmpx_ne_u64_e32 0, v[6:7]
	s_wait_alu 0xfffe
	s_xor_b32 s26, exec_lo, s2
	s_cbranch_execz .LBB0_4
; %bb.3:                                ;   in Loop: Header=BB0_2 Depth=1
	s_cvt_f32_u32 s2, s24
	s_cvt_f32_u32 s27, s25
	s_sub_nc_u64 s[30:31], 0, s[24:25]
	s_wait_alu 0xfffe
	s_delay_alu instid0(SALU_CYCLE_1) | instskip(SKIP_1) | instid1(SALU_CYCLE_2)
	s_fmamk_f32 s2, s27, 0x4f800000, s2
	s_wait_alu 0xfffe
	v_s_rcp_f32 s2, s2
	s_delay_alu instid0(TRANS32_DEP_1) | instskip(SKIP_1) | instid1(SALU_CYCLE_2)
	s_mul_f32 s2, s2, 0x5f7ffffc
	s_wait_alu 0xfffe
	s_mul_f32 s27, s2, 0x2f800000
	s_wait_alu 0xfffe
	s_delay_alu instid0(SALU_CYCLE_2) | instskip(SKIP_1) | instid1(SALU_CYCLE_2)
	s_trunc_f32 s27, s27
	s_wait_alu 0xfffe
	s_fmamk_f32 s2, s27, 0xcf800000, s2
	s_cvt_u32_f32 s29, s27
	s_wait_alu 0xfffe
	s_delay_alu instid0(SALU_CYCLE_1) | instskip(SKIP_1) | instid1(SALU_CYCLE_2)
	s_cvt_u32_f32 s28, s2
	s_wait_alu 0xfffe
	s_mul_u64 s[34:35], s[30:31], s[28:29]
	s_wait_alu 0xfffe
	s_mul_hi_u32 s37, s28, s35
	s_mul_i32 s36, s28, s35
	s_mul_hi_u32 s2, s28, s34
	s_mul_i32 s33, s29, s34
	s_wait_alu 0xfffe
	s_add_nc_u64 s[36:37], s[2:3], s[36:37]
	s_mul_hi_u32 s27, s29, s34
	s_mul_hi_u32 s38, s29, s35
	s_add_co_u32 s2, s36, s33
	s_wait_alu 0xfffe
	s_add_co_ci_u32 s2, s37, s27
	s_mul_i32 s34, s29, s35
	s_add_co_ci_u32 s35, s38, 0
	s_wait_alu 0xfffe
	s_add_nc_u64 s[34:35], s[2:3], s[34:35]
	s_wait_alu 0xfffe
	v_add_co_u32 v3, s2, s28, s34
	s_delay_alu instid0(VALU_DEP_1) | instskip(SKIP_1) | instid1(VALU_DEP_1)
	s_cmp_lg_u32 s2, 0
	s_add_co_ci_u32 s29, s29, s35
	v_readfirstlane_b32 s28, v3
	s_wait_alu 0xfffe
	s_delay_alu instid0(VALU_DEP_1)
	s_mul_u64 s[30:31], s[30:31], s[28:29]
	s_wait_alu 0xfffe
	s_mul_hi_u32 s35, s28, s31
	s_mul_i32 s34, s28, s31
	s_mul_hi_u32 s2, s28, s30
	s_mul_i32 s33, s29, s30
	s_wait_alu 0xfffe
	s_add_nc_u64 s[34:35], s[2:3], s[34:35]
	s_mul_hi_u32 s27, s29, s30
	s_mul_hi_u32 s28, s29, s31
	s_wait_alu 0xfffe
	s_add_co_u32 s2, s34, s33
	s_add_co_ci_u32 s2, s35, s27
	s_mul_i32 s30, s29, s31
	s_add_co_ci_u32 s31, s28, 0
	s_wait_alu 0xfffe
	s_add_nc_u64 s[30:31], s[2:3], s[30:31]
	s_wait_alu 0xfffe
	v_add_co_u32 v3, s2, v3, s30
	s_delay_alu instid0(VALU_DEP_1) | instskip(SKIP_1) | instid1(VALU_DEP_1)
	s_cmp_lg_u32 s2, 0
	s_add_co_ci_u32 s2, s29, s31
	v_mul_hi_u32 v9, v10, v3
	s_wait_alu 0xfffe
	v_mad_co_u64_u32 v[7:8], null, v10, s2, 0
	v_mad_co_u64_u32 v[12:13], null, v11, v3, 0
	;; [unrolled: 1-line block ×3, first 2 shown]
	s_delay_alu instid0(VALU_DEP_3) | instskip(SKIP_1) | instid1(VALU_DEP_4)
	v_add_co_u32 v3, vcc_lo, v9, v7
	s_wait_alu 0xfffd
	v_add_co_ci_u32_e32 v7, vcc_lo, 0, v8, vcc_lo
	s_delay_alu instid0(VALU_DEP_2) | instskip(SKIP_1) | instid1(VALU_DEP_2)
	v_add_co_u32 v3, vcc_lo, v3, v12
	s_wait_alu 0xfffd
	v_add_co_ci_u32_e32 v3, vcc_lo, v7, v13, vcc_lo
	s_wait_alu 0xfffd
	v_add_co_ci_u32_e32 v7, vcc_lo, 0, v15, vcc_lo
	s_delay_alu instid0(VALU_DEP_2) | instskip(SKIP_1) | instid1(VALU_DEP_2)
	v_add_co_u32 v3, vcc_lo, v3, v14
	s_wait_alu 0xfffd
	v_add_co_ci_u32_e32 v9, vcc_lo, 0, v7, vcc_lo
	s_delay_alu instid0(VALU_DEP_2) | instskip(SKIP_1) | instid1(VALU_DEP_3)
	v_mul_lo_u32 v12, s25, v3
	v_mad_co_u64_u32 v[7:8], null, s24, v3, 0
	v_mul_lo_u32 v13, s24, v9
	s_delay_alu instid0(VALU_DEP_2) | instskip(NEXT) | instid1(VALU_DEP_2)
	v_sub_co_u32 v7, vcc_lo, v10, v7
	v_add3_u32 v8, v8, v13, v12
	s_delay_alu instid0(VALU_DEP_1) | instskip(SKIP_1) | instid1(VALU_DEP_1)
	v_sub_nc_u32_e32 v12, v11, v8
	s_wait_alu 0xfffd
	v_subrev_co_ci_u32_e64 v12, s2, s25, v12, vcc_lo
	v_add_co_u32 v13, s2, v3, 2
	s_wait_alu 0xf1ff
	v_add_co_ci_u32_e64 v14, s2, 0, v9, s2
	v_sub_co_u32 v15, s2, v7, s24
	v_sub_co_ci_u32_e32 v8, vcc_lo, v11, v8, vcc_lo
	s_wait_alu 0xf1ff
	v_subrev_co_ci_u32_e64 v12, s2, 0, v12, s2
	s_delay_alu instid0(VALU_DEP_3) | instskip(NEXT) | instid1(VALU_DEP_3)
	v_cmp_le_u32_e32 vcc_lo, s24, v15
	v_cmp_eq_u32_e64 s2, s25, v8
	s_wait_alu 0xfffd
	v_cndmask_b32_e64 v15, 0, -1, vcc_lo
	v_cmp_le_u32_e32 vcc_lo, s25, v12
	s_wait_alu 0xfffd
	v_cndmask_b32_e64 v16, 0, -1, vcc_lo
	v_cmp_le_u32_e32 vcc_lo, s24, v7
	;; [unrolled: 3-line block ×3, first 2 shown]
	s_wait_alu 0xfffd
	v_cndmask_b32_e64 v17, 0, -1, vcc_lo
	v_cmp_eq_u32_e32 vcc_lo, s25, v12
	s_wait_alu 0xf1ff
	s_delay_alu instid0(VALU_DEP_2)
	v_cndmask_b32_e64 v7, v17, v7, s2
	s_wait_alu 0xfffd
	v_cndmask_b32_e32 v12, v16, v15, vcc_lo
	v_add_co_u32 v15, vcc_lo, v3, 1
	s_wait_alu 0xfffd
	v_add_co_ci_u32_e32 v16, vcc_lo, 0, v9, vcc_lo
	s_delay_alu instid0(VALU_DEP_3) | instskip(SKIP_1) | instid1(VALU_DEP_2)
	v_cmp_ne_u32_e32 vcc_lo, 0, v12
	s_wait_alu 0xfffd
	v_cndmask_b32_e32 v8, v16, v14, vcc_lo
	v_cndmask_b32_e32 v12, v15, v13, vcc_lo
	v_cmp_ne_u32_e32 vcc_lo, 0, v7
	s_wait_alu 0xfffd
	s_delay_alu instid0(VALU_DEP_3) | instskip(NEXT) | instid1(VALU_DEP_3)
	v_cndmask_b32_e32 v9, v9, v8, vcc_lo
	v_cndmask_b32_e32 v8, v3, v12, vcc_lo
.LBB0_4:                                ;   in Loop: Header=BB0_2 Depth=1
	s_wait_alu 0xfffe
	s_and_not1_saveexec_b32 s2, s26
	s_cbranch_execz .LBB0_6
; %bb.5:                                ;   in Loop: Header=BB0_2 Depth=1
	v_cvt_f32_u32_e32 v3, s24
	s_sub_co_i32 s26, 0, s24
	s_delay_alu instid0(VALU_DEP_1) | instskip(NEXT) | instid1(TRANS32_DEP_1)
	v_rcp_iflag_f32_e32 v3, v3
	v_mul_f32_e32 v3, 0x4f7ffffe, v3
	s_delay_alu instid0(VALU_DEP_1) | instskip(SKIP_1) | instid1(VALU_DEP_1)
	v_cvt_u32_f32_e32 v3, v3
	s_wait_alu 0xfffe
	v_mul_lo_u32 v7, s26, v3
	s_delay_alu instid0(VALU_DEP_1) | instskip(NEXT) | instid1(VALU_DEP_1)
	v_mul_hi_u32 v7, v3, v7
	v_add_nc_u32_e32 v3, v3, v7
	s_delay_alu instid0(VALU_DEP_1) | instskip(NEXT) | instid1(VALU_DEP_1)
	v_mul_hi_u32 v3, v10, v3
	v_mul_lo_u32 v7, v3, s24
	s_delay_alu instid0(VALU_DEP_1) | instskip(NEXT) | instid1(VALU_DEP_1)
	v_sub_nc_u32_e32 v7, v10, v7
	v_subrev_nc_u32_e32 v9, s24, v7
	v_cmp_le_u32_e32 vcc_lo, s24, v7
	s_wait_alu 0xfffd
	s_delay_alu instid0(VALU_DEP_2) | instskip(NEXT) | instid1(VALU_DEP_1)
	v_dual_cndmask_b32 v7, v7, v9 :: v_dual_add_nc_u32 v8, 1, v3
	v_cndmask_b32_e32 v3, v3, v8, vcc_lo
	v_mov_b32_e32 v9, v6
	s_delay_alu instid0(VALU_DEP_3) | instskip(NEXT) | instid1(VALU_DEP_3)
	v_cmp_le_u32_e32 vcc_lo, s24, v7
	v_add_nc_u32_e32 v8, 1, v3
	s_wait_alu 0xfffd
	s_delay_alu instid0(VALU_DEP_1)
	v_cndmask_b32_e32 v8, v3, v8, vcc_lo
.LBB0_6:                                ;   in Loop: Header=BB0_2 Depth=1
	s_wait_alu 0xfffe
	s_or_b32 exec_lo, exec_lo, s2
	v_mul_lo_u32 v3, v9, s24
	s_delay_alu instid0(VALU_DEP_2)
	v_mul_lo_u32 v7, v8, s25
	s_load_b64 s[26:27], s[18:19], 0x0
	v_mad_co_u64_u32 v[12:13], null, v8, s24, 0
	s_load_b64 s[24:25], s[16:17], 0x0
	s_add_nc_u64 s[20:21], s[20:21], 1
	s_add_nc_u64 s[16:17], s[16:17], 8
	s_wait_alu 0xfffe
	v_cmp_ge_u64_e64 s2, s[20:21], s[10:11]
	s_add_nc_u64 s[18:19], s[18:19], 8
	s_add_nc_u64 s[22:23], s[22:23], 8
	v_add3_u32 v3, v13, v7, v3
	v_sub_co_u32 v7, vcc_lo, v10, v12
	s_wait_alu 0xfffd
	s_delay_alu instid0(VALU_DEP_2) | instskip(SKIP_2) | instid1(VALU_DEP_1)
	v_sub_co_ci_u32_e32 v3, vcc_lo, v11, v3, vcc_lo
	s_and_b32 vcc_lo, exec_lo, s2
	s_wait_kmcnt 0x0
	v_mul_lo_u32 v10, s26, v3
	v_mul_lo_u32 v11, s27, v7
	v_mad_co_u64_u32 v[1:2], null, s26, v7, v[1:2]
	v_mul_lo_u32 v3, s24, v3
	v_mul_lo_u32 v12, s25, v7
	v_mad_co_u64_u32 v[4:5], null, s24, v7, v[4:5]
	s_delay_alu instid0(VALU_DEP_4) | instskip(NEXT) | instid1(VALU_DEP_2)
	v_add3_u32 v2, v11, v2, v10
	v_add3_u32 v5, v12, v5, v3
	s_wait_alu 0xfffe
	s_cbranch_vccnz .LBB0_9
; %bb.7:                                ;   in Loop: Header=BB0_2 Depth=1
	v_dual_mov_b32 v11, v9 :: v_dual_mov_b32 v10, v8
	s_branch .LBB0_2
.LBB0_8:
	v_dual_mov_b32 v5, v2 :: v_dual_mov_b32 v4, v1
	v_dual_mov_b32 v8, v10 :: v_dual_mov_b32 v9, v11
.LBB0_9:
	s_load_b64 s[0:1], s[0:1], 0x28
	v_mul_hi_u32 v3, 0x15e75bc, v0
                                        ; implicit-def: $vgpr6
	s_wait_kmcnt 0x0
	s_delay_alu instid0(VALU_DEP_2) | instskip(SKIP_1) | instid1(VALU_DEP_1)
	v_cmp_gt_u64_e32 vcc_lo, s[0:1], v[8:9]
	v_cmp_le_u64_e64 s0, s[0:1], v[8:9]
	s_and_saveexec_b32 s1, s0
	s_wait_alu 0xfffe
	s_xor_b32 s0, exec_lo, s1
; %bb.10:
	s_delay_alu instid0(VALU_DEP_3) | instskip(NEXT) | instid1(VALU_DEP_1)
	v_mul_u32_u24_e32 v1, 0xbb, v3
                                        ; implicit-def: $vgpr3
	v_sub_nc_u32_e32 v6, v0, v1
                                        ; implicit-def: $vgpr0
                                        ; implicit-def: $vgpr1_vgpr2
; %bb.11:
	s_wait_alu 0xfffe
	s_or_saveexec_b32 s1, s0
	s_lshl_b64 s[2:3], s[10:11], 3
	s_wait_alu 0xfffe
	s_xor_b32 exec_lo, exec_lo, s1
	s_cbranch_execz .LBB0_13
; %bb.12:
	s_add_nc_u64 s[10:11], s[12:13], s[2:3]
	v_mul_u32_u24_e32 v3, 0xbb, v3
	s_load_b64 s[10:11], s[10:11], 0x0
	v_lshlrev_b64_e32 v[1:2], 2, v[1:2]
	s_wait_kmcnt 0x0
	v_mul_lo_u32 v10, s11, v8
	v_mul_lo_u32 v11, s10, v9
	v_mad_co_u64_u32 v[6:7], null, s10, v8, 0
	s_delay_alu instid0(VALU_DEP_1) | instskip(NEXT) | instid1(VALU_DEP_1)
	v_add3_u32 v7, v7, v11, v10
	v_lshlrev_b64_e32 v[10:11], 2, v[6:7]
	v_sub_nc_u32_e32 v6, v0, v3
	s_delay_alu instid0(VALU_DEP_1) | instskip(NEXT) | instid1(VALU_DEP_3)
	v_lshlrev_b32_e32 v7, 2, v6
	v_add_co_u32 v0, s0, s4, v10
	s_wait_alu 0xf1ff
	s_delay_alu instid0(VALU_DEP_4) | instskip(NEXT) | instid1(VALU_DEP_2)
	v_add_co_ci_u32_e64 v3, s0, s5, v11, s0
	v_add_co_u32 v0, s0, v0, v1
	s_wait_alu 0xf1ff
	s_delay_alu instid0(VALU_DEP_2) | instskip(NEXT) | instid1(VALU_DEP_2)
	v_add_co_ci_u32_e64 v1, s0, v3, v2, s0
	v_add_co_u32 v0, s0, v0, v7
	s_wait_alu 0xf1ff
	s_delay_alu instid0(VALU_DEP_2)
	v_add_co_ci_u32_e64 v1, s0, 0, v1, s0
	s_clause 0x7
	global_load_b32 v2, v[0:1], off
	global_load_b32 v3, v[0:1], off offset:748
	global_load_b32 v10, v[0:1], off offset:1496
	;; [unrolled: 1-line block ×7, first 2 shown]
	v_add_nc_u32_e32 v1, 0, v7
	s_delay_alu instid0(VALU_DEP_1)
	v_add_nc_u32_e32 v7, 0x500, v1
	v_add_nc_u32_e32 v15, 0xb00, v1
	;; [unrolled: 1-line block ×3, first 2 shown]
	s_wait_loadcnt 0x6
	ds_store_2addr_b32 v1, v2, v3 offset1:187
	s_wait_loadcnt 0x4
	ds_store_2addr_b32 v7, v10, v11 offset0:54 offset1:241
	s_wait_loadcnt 0x2
	ds_store_2addr_b32 v15, v12, v13 offset0:44 offset1:231
	;; [unrolled: 2-line block ×3, first 2 shown]
.LBB0_13:
	s_or_b32 exec_lo, exec_lo, s1
	v_lshl_add_u32 v24, v6, 2, 0
	global_wb scope:SCOPE_SE
	s_wait_dscnt 0x0
	s_barrier_signal -1
	s_barrier_wait -1
	global_inv scope:SCOPE_SE
	ds_load_2addr_b32 v[12:13], v24 offset1:88
	ds_load_b32 v25, v24 offset:5632
	v_add_nc_u32_e32 v0, 0x200, v24
	v_add_nc_u32_e32 v1, 0x1200, v24
	;; [unrolled: 1-line block ×4, first 2 shown]
	ds_load_2addr_b32 v[22:23], v0 offset0:48 offset1:136
	ds_load_2addr_b32 v[2:3], v1 offset0:80 offset1:168
	v_add_nc_u32_e32 v0, 0x800, v24
	v_add_nc_u32_e32 v1, 0xc00, v24
	ds_load_2addr_b32 v[20:21], v7 offset0:96 offset1:184
	ds_load_2addr_b32 v[10:11], v10 offset0:32 offset1:120
	;; [unrolled: 1-line block ×4, first 2 shown]
	v_add_nc_u32_e32 v0, 0xa00, v24
	s_add_nc_u64 s[2:3], s[14:15], s[2:3]
	s_mov_b32 s1, exec_lo
	ds_load_2addr_b32 v[16:17], v0 offset0:64 offset1:152
	global_wb scope:SCOPE_SE
	s_wait_dscnt 0x0
	s_barrier_signal -1
	s_barrier_wait -1
	v_pk_add_f16 v46, v13, v25 op_sel:[1,1] op_sel_hi:[0,0] neg_lo:[0,1] neg_hi:[0,1]
	v_pk_add_f16 v32, v25, v13 op_sel:[1,1] op_sel_hi:[0,0]
	global_inv scope:SCOPE_SE
	v_pk_mul_f16 v36, 0xb836b1e1, v46
	v_pk_add_f16 v27, v3, v22
	v_pk_add_f16 v52, v22, v3 neg_lo:[0,1] neg_hi:[0,1]
	v_pk_add_f16 v28, v2, v23
	v_pk_add_f16 v51, v23, v2 neg_lo:[0,1] neg_hi:[0,1]
	v_pk_fma_f16 v0, 0xbbddbacd, v32, v36 op_sel:[0,0,1] op_sel_hi:[1,1,0] neg_lo:[0,0,1] neg_hi:[0,0,1]
	v_pk_mul_f16 v44, 0x37223b76, v27
	v_pk_add_f16 v29, v11, v20
	v_pk_mul_f16 v45, 0x2de8bacd, v28
	v_pk_add_f16 v48, v20, v11 neg_lo:[0,1] neg_hi:[0,1]
	v_pk_add_f16 v0, v12, v0 op_sel:[1,0] op_sel_hi:[0,1]
	v_pk_fma_f16 v1, 0x35c83b29, v52, v44 op_sel:[0,0,1] op_sel_hi:[1,1,0] neg_lo:[0,1,0] neg_hi:[0,1,0]
	v_pk_add_f16 v30, v10, v21
	v_pk_mul_f16 v58, 0xb8d239e9, v29
	v_pk_fma_f16 v33, 0xb836bbf7, v51, v45 op_sel:[0,0,1] op_sel_hi:[1,1,0] neg_lo:[0,1,0] neg_hi:[0,1,0]
	v_pk_add_f16 v47, v21, v10 neg_lo:[0,1] neg_hi:[0,1]
	v_pk_add_f16 v0, v1, v0
	v_pk_add_f16 v26, v15, v18
	v_pk_mul_f16 v57, 0x3b76b8d2, v30
	v_pk_fma_f16 v1, 0x39643a62, v48, v58 op_sel:[0,0,1] op_sel_hi:[1,1,0] neg_lo:[0,1,0] neg_hi:[0,1,0]
	v_pk_add_f16 v49, v18, v15 neg_lo:[0,1] neg_hi:[0,1]
	v_pk_add_f16 v0, v33, v0
	v_pk_mul_f16 v7, 0xb1e1b836, v46
	v_pk_mul_f16 v59, 0xbbdd3722, v26
	v_pk_fma_f16 v33, 0xba62b5c8, v47, v57 op_sel:[0,0,1] op_sel_hi:[1,1,0] neg_lo:[0,1,0] neg_hi:[0,1,0]
	v_pk_mul_f16 v62, 0x3b763722, v27
	v_pk_add_f16 v0, v1, v0
	v_pk_fma_f16 v1, 0xbacdbbdd, v32, v7 op_sel:[0,0,1] op_sel_hi:[1,1,0]
	v_pk_fma_f16 v40, 0x3b29b1e1, v49, v59 op_sel:[0,0,1] op_sel_hi:[1,1,0] neg_lo:[0,1,0] neg_hi:[0,1,0]
	v_pk_fma_f16 v54, 0xbacdbbdd, v32, v7 op_sel:[0,0,1] op_sel_hi:[1,1,0] neg_lo:[0,0,1] neg_hi:[0,0,1]
	;; [unrolled: 1-line block ×3, first 2 shown]
	v_pk_add_f16 v0, v33, v0
	v_pk_mul_f16 v63, 0xbacd2de8, v28
	v_pk_mul_f16 v64, 0x39e9b8d2, v29
	v_bfi_b32 v1, 0xffff, v54, v1
	v_pk_mul_f16 v34, 0xbbddbacd, v32
	v_pk_add_f16 v0, v40, v0
	v_pk_fma_f16 v40, 0x3b2935c8, v52, v62 op_sel:[0,0,1] op_sel_hi:[1,1,0]
	v_pk_fma_f16 v43, 0xbbf7b836, v51, v63 op_sel:[0,0,1] op_sel_hi:[1,1,0]
	v_pk_add_f16 v1, v12, v1 op_sel:[1,0] op_sel_hi:[0,1]
	v_pk_fma_f16 v66, 0x3a623964, v48, v64 op_sel:[0,0,1] op_sel_hi:[1,1,0]
	v_pk_mul_f16 v67, 0xbacdbbdd, v32
	v_bfi_b32 v42, 0xffff, v56, v40
	v_pk_fma_f16 v40, 0xbbf7b836, v51, v63 op_sel:[0,0,1] op_sel_hi:[1,1,0] neg_lo:[0,1,0] neg_hi:[0,1,0]
	v_pk_mul_f16 v55, 0x35c83b29, v52
	v_pk_mul_f16 v68, 0x3b2935c8, v52
	v_perm_b32 v7, v34, v7, 0x7060302
	v_pk_add_f16 v1, v42, v1
	v_bfi_b32 v65, 0xffff, v40, v43
	v_pk_fma_f16 v43, 0x3a623964, v48, v64 op_sel:[0,0,1] op_sel_hi:[1,1,0] neg_lo:[0,1,0] neg_hi:[0,1,0]
	v_pack_b32_f16 v67, v67, v36
	v_pk_mul_f16 v41, 0xb836bbf7, v51
	v_pk_add_f16 v31, v14, v19
	v_pk_add_f16 v1, v65, v1
	v_bfi_b32 v65, 0xffff, v43, v66
	v_pk_mul_f16 v66, 0xbbf7b836, v51
	v_pk_add_f16 v7, v7, v67
	v_pack_b32_f16 v67, v68, v44
	v_perm_b32 v68, v55, v62, 0x7060302
	v_pk_add_f16 v1, v65, v1
	v_pk_mul_f16 v65, 0xb8d23b76, v30
	v_pk_mul_f16 v39, 0x39643a62, v48
	;; [unrolled: 1-line block ×4, first 2 shown]
	v_pk_add_f16 v7, v12, v7 op_sel:[1,0] op_sel_hi:[0,1]
	v_pk_fma_f16 v71, 0xb5c8ba62, v47, v65 op_sel:[0,0,1] op_sel_hi:[1,1,0]
	v_pk_fma_f16 v62, 0xb5c8ba62, v47, v65 op_sel:[0,0,1] op_sel_hi:[1,1,0] neg_lo:[0,1,0] neg_hi:[0,1,0]
	v_pk_add_f16 v67, v67, v68
	v_pack_b32_f16 v66, v66, v45
	v_perm_b32 v68, v41, v63, 0x7060302
	v_pk_add_f16 v50, v19, v14 neg_lo:[0,1] neg_hi:[0,1]
	v_pk_mul_f16 v38, 0xba62b5c8, v47
	v_pk_mul_f16 v60, 0x39e9b461, v31
	;; [unrolled: 1-line block ×3, first 2 shown]
	v_bfi_b32 v71, 0xffff, v62, v71
	v_pk_fma_f16 v73, 0xb1e13b29, v49, v72 op_sel:[0,0,1] op_sel_hi:[1,1,0]
	v_pk_fma_f16 v63, 0xb1e13b29, v49, v72 op_sel:[0,0,1] op_sel_hi:[1,1,0] neg_lo:[0,1,0] neg_hi:[0,1,0]
	v_pk_add_f16 v7, v67, v7
	v_pk_add_f16 v66, v66, v68
	v_pack_b32_f16 v67, v69, v58
	v_perm_b32 v64, v39, v64, 0x7060302
	v_pk_mul_f16 v37, 0x3b29b1e1, v49
	v_pk_fma_f16 v33, 0xbbb23964, v50, v60 op_sel:[0,0,1] op_sel_hi:[1,1,0] neg_lo:[0,1,0] neg_hi:[0,1,0]
	v_pk_add_f16 v1, v71, v1
	v_pk_mul_f16 v68, 0xb1e13b29, v49
	v_bfi_b32 v69, 0xffff, v63, v73
	v_pk_add_f16 v7, v66, v7
	v_pk_add_f16 v64, v67, v64
	v_pack_b32_f16 v66, v70, v57
	v_perm_b32 v65, v38, v65, 0x7060302
	v_pk_mul_f16 v35, 0xbbb23964, v50
	v_pk_add_f16 v0, v33, v0
	v_pk_add_f16 v33, v17, v16
	v_pk_add_f16 v53, v16, v17 neg_lo:[0,1] neg_hi:[0,1]
	v_pk_add_f16 v1, v69, v1
	v_pk_mul_f16 v67, 0xb46139e9, v31
	v_pk_mul_f16 v69, 0x3964bbb2, v50
	v_pk_add_f16 v7, v64, v7
	v_pk_add_f16 v65, v66, v65
	v_pack_b32_f16 v66, v68, v59
	v_perm_b32 v68, v37, v72, 0x7060302
	v_pk_mul_f16 v61, 0xb4612de8, v33
	v_pk_mul_f16 v42, 0x3bf7bbb2, v53
	v_pk_fma_f16 v70, 0x3964bbb2, v50, v67 op_sel:[0,0,1] op_sel_hi:[1,1,0]
	v_pk_fma_f16 v64, 0x3964bbb2, v50, v67 op_sel:[0,0,1] op_sel_hi:[1,1,0] neg_lo:[0,1,0] neg_hi:[0,1,0]
	v_pk_mul_f16 v71, 0x2de8b461, v33
	v_pk_add_f16 v7, v65, v7
	v_pk_add_f16 v65, v66, v68
	v_pack_b32_f16 v66, v69, v60
	v_perm_b32 v67, v35, v67, 0x7060302
	v_pk_mul_f16 v68, 0xbbb23bf7, v53
	v_bfi_b32 v69, 0xffff, v64, v70
	v_pk_fma_f16 v70, 0xbbb23bf7, v53, v71 op_sel:[0,0,1] op_sel_hi:[1,1,0]
	v_pk_add_f16 v7, v65, v7
	v_pk_add_f16 v66, v66, v67
	v_pack_b32_f16 v67, v68, v61
	v_perm_b32 v68, v42, v71, 0x7060302
	v_pk_fma_f16 v65, 0xbbb23bf7, v53, v71 op_sel:[0,0,1] op_sel_hi:[1,1,0] neg_lo:[0,1,0] neg_hi:[0,1,0]
	v_pk_fma_f16 v71, 0x3bf7bbb2, v53, v61 op_sel:[0,0,1] op_sel_hi:[1,1,0] neg_lo:[0,1,0] neg_hi:[0,1,0]
	v_pk_add_f16 v1, v69, v1
	v_pk_add_f16 v66, v66, v7
	;; [unrolled: 1-line block ×3, first 2 shown]
	v_bfi_b32 v68, 0xffff, v65, v70
	v_pk_add_f16 v7, v71, v0
	s_delay_alu instid0(VALU_DEP_3) | instskip(NEXT) | instid1(VALU_DEP_3)
	v_pk_add_f16 v0, v67, v66
	v_pk_add_f16 v1, v68, v1
	v_cmpx_gt_u32_e32 0x58, v6
	s_cbranch_execz .LBB0_15
; %bb.14:
	v_alignbit_b32 v36, v36, v36, 16
	v_alignbit_b32 v66, v12, v12, 16
	;; [unrolled: 1-line block ×5, first 2 shown]
	v_add_f16_e32 v34, v36, v34
	v_lshrrev_b32_e32 v78, 16, v46
	v_add_f16_e32 v44, v55, v44
	v_add_f16_e32 v41, v41, v45
	v_alignbit_b32 v36, v57, v57, 16
	v_add_f16_e32 v55, v66, v34
	v_alignbit_b32 v68, v61, v61, 16
	v_lshrrev_b32_e32 v54, 16, v54
	v_add_f16_e32 v39, v39, v58
	v_mul_f16_e32 v61, 0xba62, v78
	v_add_f16_e32 v44, v44, v55
	v_lshrrev_b32_e32 v55, 16, v66
	v_alignbit_b32 v57, v59, v59, 16
	v_alignbit_b32 v67, v60, v60, 16
	v_lshrrev_b32_e32 v34, 16, v12
	v_add_f16_e32 v41, v41, v44
	v_lshrrev_b32_e32 v45, 16, v56
	v_mul_f16_e32 v60, 0x3bb2, v52
	v_add_f16_e32 v38, v38, v36
	v_add_f16_e32 v44, v55, v54
	;; [unrolled: 1-line block ×3, first 2 shown]
	v_lshrrev_b32_e32 v36, 16, v27
	v_fmamk_f16 v41, v32, 0xb8d2, v61
	v_add_f16_e32 v37, v37, v57
	v_add_f16_e32 v44, v45, v44
	;; [unrolled: 1-line block ×3, first 2 shown]
	v_lshrrev_b32_e32 v40, 16, v40
	v_add_f16_e32 v41, v34, v41
	v_fmamk_f16 v45, v36, 0xb461, v60
	v_mul_f16_e32 v58, 0xb5c8, v51
	v_lshrrev_b32_e32 v38, 16, v28
	v_add_f16_e32 v37, v37, v39
	v_add_f16_e32 v40, v40, v44
	v_lshrrev_b32_e32 v43, 16, v43
	v_add_f16_e32 v41, v45, v41
	v_fmamk_f16 v44, v38, 0x3b76, v58
	v_mul_f16_e32 v59, 0xb836, v48
	v_lshrrev_b32_e32 v39, 16, v29
	v_add_f16_e32 v35, v35, v67
	v_add_f16_e32 v43, v43, v40
	;; [unrolled: 7-line block ×5, first 2 shown]
	v_lshrrev_b32_e32 v62, 16, v65
	v_add_f16_e32 v44, v45, v44
	v_fmamk_f16 v64, v42, 0xbbdd, v56
	v_lshrrev_b32_e32 v45, 16, v32
	v_mul_f16_e32 v63, 0xba62, v46
	v_lshrrev_b32_e32 v79, 16, v52
	v_mul_f16_e32 v57, 0x3b29, v53
	v_lshrrev_b32_e32 v43, 16, v33
	v_add_f16_e32 v37, v62, v37
	v_fma_f16 v65, v45, 0xb8d2, -v63
	v_mul_f16_e32 v62, 0x3bb2, v79
	v_add_f16_e32 v44, v64, v44
	v_fmamk_f16 v64, v43, 0x3722, v57
	v_lshrrev_b32_e32 v80, 16, v51
	v_mul_f16_e32 v69, 0xbbb2, v78
	v_add_f16_e32 v65, v12, v65
	v_fma_f16 v66, v27, 0xb461, -v62
	v_add_f16_e32 v44, v64, v44
	v_mul_f16_e32 v64, 0xb5c8, v80
	v_lshrrev_b32_e32 v81, 16, v48
	v_fmamk_f16 v67, v32, 0xb461, v69
	v_mul_f16_e32 v70, 0x3836, v52
	v_add_f16_e32 v66, v66, v65
	v_fma_f16 v68, v28, 0x3b76, -v64
	v_mul_f16_e32 v65, 0xb836, v81
	v_lshrrev_b32_e32 v82, 16, v47
	v_add_f16_e32 v67, v34, v67
	v_fmamk_f16 v72, v36, 0xbacd, v70
	v_mul_f16_e32 v71, 0x3964, v51
	v_add_f16_e32 v66, v68, v66
	v_fma_f16 v73, v29, 0xbacd, -v65
	v_mul_f16_e32 v68, 0x3bf7, v82
	v_add_f16_e32 v67, v72, v67
	v_fmamk_f16 v74, v38, 0x39e9, v71
	v_mul_f16_e32 v72, 0xbb29, v48
	v_add_f16_e32 v66, v73, v66
	v_fma_f16 v75, v30, 0x2de8, -v68
	v_lshrrev_b32_e32 v84, 16, v49
	v_add_f16_e32 v67, v74, v67
	v_fmamk_f16 v76, v39, 0x3722, v72
	v_mul_f16_e32 v73, 0xb1e1, v47
	v_add_f16_e32 v86, v75, v66
	v_mul_f16_e32 v74, 0xb964, v84
	v_mul_f16_e32 v75, 0xbbb2, v46
	v_add_f16_e32 v66, v76, v67
	v_fmamk_f16 v77, v40, 0xbbdd, v73
	v_mul_f16_e32 v67, 0x3bf7, v49
	v_fma_f16 v87, v26, 0x39e9, -v74
	v_fma_f16 v89, v45, 0xb461, -v75
	v_lshrrev_b32_e32 v83, 16, v50
	v_add_f16_e32 v88, v77, v66
	v_mul_f16_e32 v66, 0x3836, v79
	v_fmamk_f16 v90, v41, 0x2de8, v67
	v_add_f16_e32 v86, v87, v86
	v_add_f16_e32 v87, v12, v89
	v_mul_f16_e32 v91, 0x3964, v80
	v_fma_f16 v89, v27, 0xbacd, -v66
	v_mul_f16_e32 v76, 0xb1e1, v83
	v_lshrrev_b32_e32 v85, 16, v53
	v_add_f16_e32 v88, v90, v88
	v_mul_f16_e32 v90, 0xbb29, v81
	v_add_f16_e32 v87, v89, v87
	v_fma_f16 v89, v28, 0x39e9, -v91
	v_pk_add_f16 v13, v12, v13
	v_mul_f16_e32 v77, 0xb5c8, v50
	v_fma_f16 v92, v31, 0xbbdd, -v76
	v_mul_f16_e32 v93, 0x3b29, v85
	v_add_f16_e32 v87, v89, v87
	v_fma_f16 v89, v29, 0x3722, -v90
	v_mul_f16_e32 v96, 0xb1e1, v82
	v_pk_add_f16 v13, v13, v22
	v_fmamk_f16 v94, v42, 0x3b76, v77
	v_mul_f16_e32 v95, 0xba62, v53
	v_add_f16_e32 v86, v92, v86
	v_fma_f16 v92, v33, 0x3722, -v93
	v_add_f16_e32 v22, v89, v87
	v_fma_f16 v87, v30, 0xbbdd, -v96
	v_mul_f16_e32 v89, 0x3bf7, v84
	v_pk_add_f16 v23, v13, v23
	v_add_f16_e32 v88, v94, v88
	v_fmamk_f16 v94, v43, 0xb8d2, v95
	v_add_f16_e32 v22, v87, v22
	v_fma_f16 v87, v26, 0x2de8, -v89
	v_mul_f16_e32 v97, 0xb5c8, v83
	v_add_f16_e32 v13, v92, v86
	v_pk_add_f16 v23, v23, v20
	v_mul_f16_e32 v92, 0xbbf7, v78
	v_add_f16_e32 v22, v87, v22
	v_fma_f16 v86, v31, 0x3b76, -v97
	v_add_f16_e32 v20, v94, v88
	v_pk_add_f16 v21, v23, v21
	v_fmamk_f16 v23, v32, 0x2de8, v92
	v_mul_f16_e32 v94, 0xb1e1, v52
	v_mul_f16_e32 v99, 0xbbf7, v46
	v_add_f16_e32 v22, v86, v22
	v_mul_f16_e32 v100, 0x3bb2, v51
	v_add_f16_e32 v23, v34, v23
	v_fmamk_f16 v86, v36, 0xbbdd, v94
	v_fma_f16 v88, v45, 0x2de8, -v99
	v_mul_f16_e32 v101, 0xb1e1, v79
	v_mul_f16_e32 v102, 0x35c8, v48
	v_mul_f16_e32 v104, 0x3bb2, v80
	v_add_f16_e32 v23, v86, v23
	v_fmamk_f16 v86, v38, 0xb461, v100
	v_add_f16_e32 v88, v12, v88
	v_fma_f16 v103, v27, 0xbbdd, -v101
	v_mul_f16_e32 v105, 0xbb29, v47
	v_mul_f16_e32 v106, 0x35c8, v81
	v_add_f16_e32 v23, v86, v23
	v_fmamk_f16 v86, v39, 0x3b76, v102
	v_add_f16_e32 v88, v103, v88
	v_fma_f16 v103, v28, 0xb461, -v104
	v_mul_f16_e32 v107, 0xb836, v49
	v_mul_f16_e32 v108, 0xbb29, v82
	;; [unrolled: 6-line block ×4, first 2 shown]
	v_add_f16_e32 v23, v86, v23
	v_fmamk_f16 v86, v42, 0xb8d2, v109
	v_add_f16_e32 v88, v103, v88
	v_fma_f16 v103, v26, 0xbacd, -v110
	v_mul_f16_e32 v112, 0x3a62, v83
	v_fma_f16 v87, v33, 0xb8d2, -v98
	v_add_f16_e32 v23, v86, v23
	v_mul_f16_e32 v113, 0xbb29, v78
	v_fmamk_f16 v86, v43, 0x39e9, v111
	v_add_f16_e32 v88, v103, v88
	v_fma_f16 v103, v31, 0xb8d2, -v112
	v_add_f16_e32 v22, v87, v22
	v_fmamk_f16 v87, v32, 0x3722, v113
	v_mul_f16_e32 v114, 0xba62, v52
	v_add_f16_e32 v23, v86, v23
	v_add_f16_e32 v86, v103, v88
	v_mul_f16_e32 v103, 0xbb29, v46
	v_add_f16_e32 v87, v34, v87
	v_fmamk_f16 v88, v36, 0xb8d2, v114
	v_mul_f16_e32 v115, 0x31e1, v51
	v_mul_f16_e32 v118, 0xba62, v79
	v_fma_f16 v117, v45, 0x3722, -v103
	v_mul_f16_e32 v119, 0x3bb2, v48
	v_add_f16_e32 v87, v88, v87
	v_fmamk_f16 v88, v38, 0xbbdd, v115
	v_fma_f16 v120, v27, 0xb8d2, -v118
	v_add_f16_e32 v117, v12, v117
	v_mul_f16_e32 v121, 0x31e1, v80
	v_mul_f16_e32 v122, 0x3964, v47
	v_add_f16_e32 v87, v88, v87
	v_fmamk_f16 v88, v39, 0xb461, v119
	v_add_f16_e32 v117, v120, v117
	v_fma_f16 v120, v28, 0xbbdd, -v121
	v_mul_f16_e32 v123, 0x3bb2, v81
	v_mul_f16_e32 v124, 0xb5c8, v49
	v_add_f16_e32 v87, v88, v87
	v_fmamk_f16 v88, v40, 0x39e9, v122
	v_add_f16_e32 v117, v120, v117
	v_fma_f16 v120, v29, 0xb461, -v123
	;; [unrolled: 6-line block ×3, first 2 shown]
	v_mul_f16_e32 v127, 0xb5c8, v84
	v_mul_f16_e32 v116, 0x3964, v85
	v_add_f16_e32 v87, v88, v87
	v_fmamk_f16 v88, v42, 0x2de8, v126
	v_mul_f16_e64 v128, 0xb836, v53
	v_add_f16_e32 v117, v120, v117
	v_fma_f16 v120, v26, 0x3b76, -v127
	v_mul_f16_e64 v129, 0xbbf7, v83
	v_mul_f16_e64 v131, 0xb964, v78
	v_fma_f16 v130, v33, 0x39e9, -v116
	v_add_f16_e32 v87, v88, v87
	v_fma_f16 v88, 0xbacd, v43, v128
	v_add_f16_e32 v117, v120, v117
	v_fma_f16 v120, v31, 0x2de8, -v129
	v_fma_f16 v132, 0x39e9, v32, v131
	v_mul_f16_e64 v133, 0xbbf7, v52
	v_mul_f16_e64 v134, 0xb836, v85
	v_add_f16_e64 v86, v130, v86
	v_add_f16_e32 v87, v88, v87
	v_add_f16_e64 v88, v34, v132
	v_fma_f16 v130, 0x2de8, v36, v133
	v_mul_f16_e64 v132, 0xba62, v51
	v_add_f16_e32 v117, v120, v117
	v_fma_f16 v120, v33, 0xbacd, -v134
	v_mul_f16_e64 v135, 0xb964, v46
	v_add_f16_e64 v130, v130, v88
	v_fma_f16 v136, 0xb8d2, v38, v132
	v_mul_f16_e64 v137, 0xb1e1, v48
	v_add_f16_e32 v88, v120, v117
	v_fma_f16 v117, v45, 0x39e9, -v135
	v_mul_f16_e32 v120, 0xbbf7, v79
	v_add_f16_e64 v130, v136, v130
	v_fma_f16 v136, 0xbbdd, v39, v137
	v_mul_f16_e64 v138, 0x3836, v47
	v_add_f16_e32 v117, v12, v117
	v_fma_f16 v139, v27, 0x2de8, -v120
	v_mul_f16_e64 v140, 0xba62, v80
	v_add_f16_e64 v130, v136, v130
	v_fma_f16 v136, 0xbacd, v40, v138
	v_mul_f16_e64 v141, 0x3bb2, v49
	v_add_f16_e64 v117, v139, v117
	v_fma_f16 v139, v28, 0xb8d2, -v140
	v_mul_f16_e64 v142, 0xb1e1, v81
	v_add_f16_e64 v130, v136, v130
	v_fma_f16 v136, 0xb461, v41, v141
	v_mul_f16_e64 v143, 0x3b29, v50
	v_add_f16_e64 v117, v139, v117
	v_fma_f16 v139, v29, 0xbbdd, -v142
	v_mul_f16_e64 v144, 0x3836, v82
	v_add_f16_e64 v130, v136, v130
	v_fma_f16 v136, 0x3722, v42, v143
	v_mul_f16_e64 v145, 0x35c8, v53
	v_add_f16_e64 v117, v139, v117
	v_fma_f16 v139, v30, 0xbacd, -v144
	v_mul_f16_e64 v146, 0x3bb2, v84
	v_add_f16_e64 v130, v136, v130
	v_fma_f16 v136, 0x3b76, v43, v145
	v_mul_f16_e32 v78, 0xb5c8, v78
	v_add_f16_e64 v117, v139, v117
	v_fma_f16 v139, v26, 0xb461, -v146
	v_mul_f16_e64 v147, 0x3b29, v83
	v_add_f16_e64 v130, v136, v130
	v_fma_f16 v136, 0x3b76, v32, v78
	v_mul_f16_e32 v52, 0xb964, v52
	v_add_f16_e64 v117, v139, v117
	;; [unrolled: 6-line block ×3, first 2 shown]
	v_fma_f16 v139, v33, 0x3b76, -v148
	v_mul_f16_e32 v46, 0xb5c8, v46
	v_add_f16_e64 v136, v149, v136
	v_fma_f16 v149, 0x3722, v38, v51
	v_mul_f16_e32 v48, 0xbbf7, v48
	v_add_f16_e64 v117, v139, v117
	v_fma_f16 v139, v45, 0x3b76, -v46
	v_mul_f16_e32 v79, 0xb964, v79
	v_add_f16_e64 v136, v149, v136
	v_fma_f16 v149, 0x2de8, v39, v48
	v_mul_f16_e32 v47, 0xbbb2, v47
	v_add_f16_e64 v139, v12, v139
	;; [unrolled: 6-line block ×5, first 2 shown]
	v_fma_f16 v150, v30, 0xb461, -v82
	v_mul_f16_e32 v84, 0xba62, v84
	v_add_f16_e64 v136, v149, v136
	v_fma_f16 v149, 0xbbdd, v43, v53
	v_fma_f16 v61, v32, 0xb8d2, -v61
	v_add_f16_e64 v139, v150, v139
	v_fma_f16 v150, v26, 0xb8d2, -v84
	v_mul_f16_e32 v83, 0xb836, v83
	v_add_f16_e64 v136, v149, v136
	v_add_f16_e32 v61, v34, v61
	v_fma_f16 v60, v36, 0xb461, -v60
	v_add_f16_e64 v139, v150, v139
	v_fma_f16 v149, v31, 0xbacd, -v83
	v_mul_f16_e32 v85, 0xb1e1, v85
	v_fma_f16 v58, v38, 0x3b76, -v58
	v_add_f16_e32 v60, v60, v61
	v_fmac_f16_e32 v63, 0xb8d2, v45
	v_add_f16_e64 v61, v149, v139
	v_fma_f16 v139, v33, 0xbbdd, -v85
	v_fma_f16 v59, v39, 0xbacd, -v59
	v_add_f16_e32 v58, v58, v60
	v_add_f16_e32 v63, v12, v63
	v_fmac_f16_e32 v62, 0xb461, v27
	v_add_f16_e64 v60, v139, v61
	v_fma_f16 v61, v32, 0xb461, -v69
	v_add_f16_e32 v58, v59, v58
	v_fma_f16 v54, v40, 0x2de8, -v54
	v_add_f16_e32 v62, v62, v63
	v_fmac_f16_e32 v64, 0x3b76, v28
	v_add_f16_e32 v59, v34, v61
	v_fma_f16 v61, v36, 0xbacd, -v70
	v_add_f16_e32 v54, v54, v58
	v_fma_f16 v55, v41, 0x39e9, -v55
	v_add_f16_e32 v62, v64, v62
	v_fmac_f16_e32 v65, 0xbacd, v29
	v_add_f16_e32 v58, v61, v59
	;; [unrolled: 6-line block ×3, first 2 shown]
	v_fma_f16 v58, v39, 0x3722, -v72
	v_add_f16_e32 v54, v55, v54
	v_fma_f16 v55, v43, 0x3722, -v57
	v_fma_f16 v57, v40, 0xbbdd, -v73
	v_add_f16_e32 v59, v68, v61
	v_add_f16_e32 v56, v58, v56
	v_fmac_f16_e32 v74, 0x39e9, v26
	v_add_f16_e32 v54, v55, v54
	v_fma_f16 v61, v36, 0xbbdd, -v94
	v_fma_f16 v62, v32, 0x3722, -v113
	v_add_f16_e32 v55, v57, v56
	v_fma_f16 v56, v41, 0x2de8, -v67
	v_add_f16_e32 v58, v74, v59
	v_fma_f16 v59, v32, 0x2de8, -v92
	v_add_f16_e32 v62, v34, v62
	v_fma_f16 v63, v36, 0xb8d2, -v114
	v_add_f16_e32 v55, v56, v55
	v_fma_f16 v56, v42, 0x3b76, -v77
	v_add_f16_e32 v59, v34, v59
	v_fma_f16 v64, v32, 0x39e9, -v131
	v_fma_f16 v65, v36, 0x2de8, -v133
	v_pk_add_f16 v18, v21, v18
	v_add_f16_e32 v55, v56, v55
	v_fma_f16 v56, v43, 0xb8d2, -v95
	v_add_f16_e32 v64, v34, v64
	v_fmac_f16_e32 v76, 0xbbdd, v31
	v_pk_add_f16 v18, v18, v19
	v_fmac_f16_e32 v75, 0xb461, v45
	v_add_f16_e32 v55, v56, v55
	v_add_f16_e32 v56, v61, v59
	v_fma_f16 v59, v38, 0xb461, -v100
	v_add_f16_e32 v64, v65, v64
	v_fma_f16 v65, v38, 0xb8d2, -v132
	v_fmac_f16_e32 v99, 0x2de8, v45
	v_fmac_f16_e32 v103, 0x3722, v45
	v_add_f16_e32 v56, v59, v56
	v_fma_f16 v59, v39, 0x3b76, -v102
	v_add_f16_e32 v64, v65, v64
	v_fma_f16 v65, v39, 0xbbdd, -v137
	v_fmac_f16_e64 v135, 0x39e9, v45
	v_fma_f16 v32, v32, 0x3b76, -v78
	v_add_f16_e32 v56, v59, v56
	v_fma_f16 v59, v40, 0x3722, -v105
	v_fmac_f16_e32 v46, 0x3b76, v45
	v_pk_add_f16 v16, v18, v16
	v_add_f16_e32 v57, v76, v58
	v_add_f16_e32 v58, v12, v75
	;; [unrolled: 1-line block ×3, first 2 shown]
	v_fma_f16 v59, v41, 0xbacd, -v107
	v_fmac_f16_e32 v66, 0xbacd, v27
	v_add_f16_e32 v61, v12, v99
	v_fmac_f16_e32 v101, 0xbbdd, v27
	v_fmac_f16_e32 v118, 0xb8d2, v27
	v_add_f16_e32 v56, v59, v56
	v_fma_f16 v59, v42, 0xb8d2, -v109
	v_fmac_f16_e32 v120, 0x2de8, v27
	v_add_f16_e32 v21, v34, v32
	v_fma_f16 v32, v36, 0x39e9, -v52
	;; [unrolled: 3-line block ×3, first 2 shown]
	v_pk_add_f16 v16, v16, v17
	v_add_f16_e32 v58, v66, v58
	v_fmac_f16_e32 v91, 0x39e9, v28
	v_add_f16_e32 v61, v101, v61
	v_add_f16_e32 v56, v59, v56
	;; [unrolled: 1-line block ×3, first 2 shown]
	v_fma_f16 v62, v38, 0xbbdd, -v115
	v_add_f16_e32 v63, v12, v103
	v_fmac_f16_e32 v104, 0xb461, v28
	v_fmac_f16_e32 v121, 0xbbdd, v28
	v_fmac_f16_e64 v140, 0xb8d2, v28
	v_add_f16_e32 v59, v62, v59
	v_fma_f16 v62, v39, 0xb461, -v119
	v_add_f16_e32 v63, v118, v63
	v_add_f16_e32 v21, v32, v21
	v_fma_f16 v27, v38, 0x3722, -v51
	v_fmac_f16_e32 v80, 0x3722, v28
	v_add_f16_e32 v59, v62, v59
	v_fma_f16 v62, v40, 0x39e9, -v122
	v_pk_add_f16 v14, v16, v14
	v_add_f16_e32 v58, v91, v58
	v_fmac_f16_e32 v90, 0x3722, v29
	v_add_f16_e32 v61, v104, v61
	v_add_f16_e32 v59, v62, v59
	v_fma_f16 v62, v41, 0x3b76, -v124
	v_fmac_f16_e32 v106, 0x3b76, v29
	v_add_f16_e32 v63, v121, v63
	v_fmac_f16_e32 v123, 0xb461, v29
	v_fmac_f16_e64 v142, 0xbbdd, v29
	v_add_f16_e32 v59, v62, v59
	v_fma_f16 v62, v42, 0x2de8, -v126
	v_add_f16_e32 v18, v27, v21
	v_fma_f16 v17, v39, 0x2de8, -v48
	v_fmac_f16_e32 v81, 0x2de8, v29
	v_pk_add_f16 v14, v14, v15
	v_add_f16_e32 v59, v62, v59
	v_add_f16_e32 v62, v65, v64
	v_fma_f16 v64, v40, 0xbacd, -v138
	v_add_f16_e64 v65, v12, v135
	v_add_f16_e32 v12, v12, v46
	v_add_f16_e32 v58, v90, v58
	v_fmac_f16_e32 v96, 0xbbdd, v30
	v_add_f16_e32 v62, v64, v62
	v_fma_f16 v64, v43, 0xbacd, -v128
	v_add_f16_e32 v65, v120, v65
	v_add_f16_e32 v12, v79, v12
	;; [unrolled: 1-line block ×3, first 2 shown]
	v_fmac_f16_e32 v108, 0x3722, v30
	v_add_f16_e32 v59, v64, v59
	v_add_f16_e64 v64, v140, v65
	v_add_f16_e32 v12, v80, v12
	v_add_f16_e32 v63, v123, v63
	v_fmac_f16_e32 v125, 0x39e9, v30
	v_fmac_f16_e64 v144, 0xbacd, v30
	v_add_f16_e64 v64, v142, v64
	v_add_f16_e32 v16, v17, v18
	v_fma_f16 v17, v40, 0xb461, -v47
	v_add_f16_e32 v12, v81, v12
	v_fmac_f16_e32 v82, 0xb461, v30
	v_pk_add_f16 v10, v14, v10
	v_add_f16_e32 v58, v96, v58
	v_fmac_f16_e32 v89, 0x2de8, v26
	v_add_f16_e32 v61, v108, v61
	v_fmac_f16_e32 v110, 0xbacd, v26
	;; [unrolled: 2-line block ×3, first 2 shown]
	v_fma_f16 v66, v41, 0xb461, -v141
	v_add_f16_e64 v19, v144, v64
	v_fmac_f16_e64 v146, 0xb461, v26
	v_add_f16_e32 v15, v17, v16
	v_fma_f16 v16, v41, 0xb8d2, -v49
	v_add_f16_e32 v12, v82, v12
	v_fmac_f16_e32 v84, 0xb8d2, v26
	v_pk_add_f16 v10, v10, v11
	v_add_f16_e32 v58, v89, v58
	v_fmac_f16_e32 v97, 0x3b76, v31
	v_add_f16_e32 v61, v110, v61
	v_fmac_f16_e32 v112, 0xb8d2, v31
	v_add_f16_e32 v63, v127, v63
	v_fmac_f16_e64 v129, 0x2de8, v31
	v_add_f16_e32 v62, v66, v62
	v_fma_f16 v66, v42, 0x3722, -v143
	v_add_f16_e64 v19, v146, v19
	v_fmac_f16_e64 v147, 0x3722, v31
	v_add_f16_e32 v15, v16, v15
	v_fma_f16 v16, v42, 0xbacd, -v50
	v_add_f16_e32 v11, v84, v12
	v_fmac_f16_e32 v83, 0xbacd, v31
	v_pk_add_f16 v2, v10, v2
	v_fmac_f16_e32 v93, 0x3722, v33
	v_add_f16_e32 v58, v97, v58
	v_fmac_f16_e32 v98, 0xb8d2, v33
	v_add_f16_e32 v61, v112, v61
	v_fmac_f16_e32 v116, 0x39e9, v33
	v_add_f16_e64 v63, v129, v63
	v_fmac_f16_e64 v134, 0xbacd, v33
	v_add_f16_e32 v62, v66, v62
	v_fma_f16 v65, v43, 0x3b76, -v145
	v_add_f16_e64 v14, v147, v19
	v_fmac_f16_e64 v148, 0x3b76, v33
	v_add_f16_e32 v12, v16, v15
	v_fma_f16 v10, v43, 0xbbdd, -v53
	v_add_f16_e32 v11, v83, v11
	v_fmac_f16_e32 v85, 0xbbdd, v33
	v_pk_add_f16 v2, v2, v3
	v_add_f16_e32 v57, v93, v57
	v_add_f16_e32 v58, v98, v58
	;; [unrolled: 1-line block ×3, first 2 shown]
	v_add_f16_e64 v63, v134, v63
	v_add_f16_e32 v15, v65, v62
	v_add_f16_e64 v14, v148, v14
	v_add_f16_e32 v16, v10, v12
	v_add_f16_e32 v10, v85, v11
	v_lshl_add_u32 v17, v6, 6, v24
	v_pk_add_f16 v18, v2, v25
	v_pack_b32_f16 v19, v60, v136
	v_pack_b32_f16 v21, v88, v87
	;; [unrolled: 1-line block ×8, first 2 shown]
	v_perm_b32 v2, v57, v7, 0x5040100
	v_pack_b32_f16 v13, v15, v10
	v_pack_b32_f16 v12, v59, v14
	;; [unrolled: 1-line block ×4, first 2 shown]
	ds_store_2addr_b32 v17, v18, v19 offset1:1
	ds_store_2addr_b32 v17, v25, v21 offset0:2 offset1:3
	ds_store_2addr_b32 v17, v22, v20 offset0:4 offset1:5
	;; [unrolled: 1-line block ×3, first 2 shown]
	ds_store_b16_d16_hi v17, v7 offset:32
	ds_store_b128 v17, v[0:3] offset:34
	ds_store_b128 v17, v[10:13] offset:50
	ds_store_b16 v17, v16 offset:66
.LBB0_15:
	s_wait_alu 0xfffe
	s_or_b32 exec_lo, exec_lo, s1
	v_and_b32_e32 v2, 0xff, v6
	s_load_b64 s[2:3], s[2:3], 0x0
	global_wb scope:SCOPE_SE
	s_wait_dscnt 0x0
	s_wait_kmcnt 0x0
	s_barrier_signal -1
	s_barrier_wait -1
	v_mul_lo_u16 v2, 0xf1, v2
	global_inv scope:SCOPE_SE
	v_add_nc_u32_e32 v11, 0x1100, v24
	v_add_nc_u32_e32 v21, 0x500, v24
	;; [unrolled: 1-line block ×3, first 2 shown]
	v_lshrrev_b16 v10, 12, v2
	v_cmp_gt_u32_e64 s0, 0x88, v6
	s_delay_alu instid0(VALU_DEP_2) | instskip(SKIP_1) | instid1(VALU_DEP_2)
	v_mul_lo_u16 v2, v10, 17
	v_and_b32_e32 v10, 0xffff, v10
	v_sub_nc_u16 v2, v6, v2
	s_delay_alu instid0(VALU_DEP_2) | instskip(NEXT) | instid1(VALU_DEP_2)
	v_mul_u32_u24_e32 v10, 0x220, v10
	v_and_b32_e32 v23, 0xff, v2
	s_delay_alu instid0(VALU_DEP_1) | instskip(SKIP_1) | instid1(VALU_DEP_2)
	v_mul_u32_u24_e32 v2, 7, v23
	v_lshlrev_b32_e32 v23, 2, v23
	v_lshlrev_b32_e32 v2, 2, v2
	s_delay_alu instid0(VALU_DEP_2)
	v_add3_u32 v10, 0, v10, v23
	s_clause 0x1
	global_load_b128 v[12:15], v2, s[8:9]
	global_load_b96 v[16:18], v2, s[8:9] offset:16
	ds_load_2addr_b32 v[2:3], v24 offset1:187
	ds_load_2addr_b32 v[19:20], v11 offset0:34 offset1:221
	ds_load_2addr_b32 v[21:22], v21 offset0:54 offset1:241
	;; [unrolled: 1-line block ×3, first 2 shown]
	v_lshrrev_b32_e32 v11, 16, v0
	global_wb scope:SCOPE_SE
	s_wait_loadcnt_dscnt 0x0
	s_barrier_signal -1
	s_barrier_wait -1
	global_inv scope:SCOPE_SE
	v_lshrrev_b32_e32 v29, 16, v20
	v_lshrrev_b32_e32 v27, 16, v3
	;; [unrolled: 1-line block ×15, first 2 shown]
	v_mul_f16_e32 v41, v23, v27
	v_mul_f16_e32 v23, v23, v3
	;; [unrolled: 1-line block ×14, first 2 shown]
	v_fma_f16 v3, v12, v3, -v41
	v_fmac_f16_e32 v23, v12, v27
	v_fma_f16 v12, v13, v21, -v42
	v_fmac_f16_e32 v35, v13, v30
	;; [unrolled: 2-line block ×7, first 2 shown]
	v_sub_f16_e32 v14, v2, v14
	v_sub_f16_e32 v18, v28, v37
	;; [unrolled: 1-line block ×8, first 2 shown]
	v_fma_f16 v2, v2, 2.0, -v14
	v_fma_f16 v22, v28, 2.0, -v18
	;; [unrolled: 1-line block ×8, first 2 shown]
	v_sub_f16_e32 v27, v14, v19
	v_add_f16_e32 v28, v18, v16
	v_sub_f16_e32 v16, v15, v21
	v_add_f16_e32 v17, v20, v17
	v_sub_f16_e32 v29, v2, v12
	v_sub_f16_e32 v25, v22, v25
	v_fma_f16 v30, v14, 2.0, -v27
	v_fma_f16 v31, v18, 2.0, -v28
	v_sub_f16_e32 v14, v3, v13
	v_sub_f16_e32 v12, v23, v26
	v_fma_f16 v18, v15, 2.0, -v16
	v_fma_f16 v26, v20, 2.0, -v17
	v_fmamk_f16 v13, v16, 0x39a8, v27
	v_fmamk_f16 v20, v17, 0x39a8, v28
	v_fma_f16 v2, v2, 2.0, -v29
	v_fma_f16 v32, v22, 2.0, -v25
	;; [unrolled: 1-line block ×4, first 2 shown]
	v_fmamk_f16 v15, v18, 0xb9a8, v30
	v_fmamk_f16 v19, v26, 0xb9a8, v31
	v_sub_f16_e32 v12, v29, v12
	v_add_f16_e32 v21, v25, v14
	v_fmac_f16_e32 v13, 0xb9a8, v17
	v_fmac_f16_e32 v20, 0x39a8, v16
	v_sub_f16_e32 v14, v2, v3
	v_sub_f16_e32 v22, v32, v22
	v_fmac_f16_e32 v15, 0xb9a8, v26
	v_fmac_f16_e32 v19, 0x39a8, v18
	v_fma_f16 v16, v29, 2.0, -v12
	v_fma_f16 v23, v25, 2.0, -v21
	;; [unrolled: 1-line block ×8, first 2 shown]
	v_pack_b32_f16 v27, v12, v21
	v_pack_b32_f16 v28, v13, v20
	;; [unrolled: 1-line block ×8, first 2 shown]
	ds_store_2addr_b32 v10, v27, v28 offset0:102 offset1:119
	ds_store_2addr_b32 v10, v29, v30 offset0:34 offset1:51
	;; [unrolled: 1-line block ×3, first 2 shown]
	ds_store_2addr_b32 v10, v33, v34 offset1:17
	global_wb scope:SCOPE_SE
	s_wait_dscnt 0x0
	s_barrier_signal -1
	s_barrier_wait -1
	global_inv scope:SCOPE_SE
	s_and_saveexec_b32 s1, s0
	s_cbranch_execz .LBB0_17
; %bb.16:
	v_add_nc_u32_e32 v0, 0x1000, v24
	v_add_nc_u32_e32 v1, 0x400, v24
	;; [unrolled: 1-line block ×4, first 2 shown]
	ds_load_2addr_b32 v[2:3], v24 offset1:136
	ds_load_2addr_b32 v[10:11], v0 offset0:64 offset1:200
	ds_load_2addr_b32 v[16:17], v1 offset0:16 offset1:152
	ds_load_2addr_b32 v[14:15], v7 offset0:32 offset1:168
	ds_load_2addr_b32 v[12:13], v12 offset0:48 offset1:184
	ds_load_b32 v1, v24 offset:5440
	s_wait_dscnt 0x4
	v_lshrrev_b32_e32 v0, 16, v10
	s_wait_dscnt 0x3
	v_lshrrev_b32_e32 v23, 16, v16
	v_lshrrev_b32_e32 v25, 16, v17
	;; [unrolled: 1-line block ×4, first 2 shown]
	s_wait_dscnt 0x2
	v_lshrrev_b32_e32 v22, 16, v14
	v_lshrrev_b32_e32 v19, 16, v15
	s_wait_dscnt 0x1
	v_lshrrev_b32_e32 v21, 16, v12
	v_lshrrev_b32_e32 v20, 16, v13
	s_wait_dscnt 0x0
	v_alignbit_b32 v7, v10, v1, 16
	v_alignbit_b32 v1, v1, v11, 16
.LBB0_17:
	s_wait_alu 0xfffe
	s_or_b32 exec_lo, exec_lo, s1
	global_wb scope:SCOPE_SE
	s_barrier_signal -1
	s_barrier_wait -1
	global_inv scope:SCOPE_SE
	s_and_saveexec_b32 s1, s0
	s_cbranch_execz .LBB0_19
; %bb.18:
	v_add_nc_u32_e32 v10, 0xffffff78, v6
	v_dual_mov_b32 v28, 0 :: v_dual_add_nc_u32 v39, 0x800, v24
	v_lshrrev_b32_e32 v37, 16, v7
	v_add_nc_u32_e32 v38, 0x400, v24
	s_delay_alu instid0(VALU_DEP_4) | instskip(SKIP_2) | instid1(VALU_DEP_3)
	v_cndmask_b32_e64 v10, v10, v6, s0
	v_add_nc_u32_e32 v40, 0xc00, v24
	v_add_nc_u32_e32 v41, 0x1000, v24
	v_mul_i32_i24_e32 v27, 10, v10
	v_lshrrev_b32_e32 v10, 16, v1
	s_delay_alu instid0(VALU_DEP_2) | instskip(NEXT) | instid1(VALU_DEP_1)
	v_lshlrev_b64_e32 v[27:28], 2, v[27:28]
	v_add_co_u32 v35, s0, s8, v27
	s_wait_alu 0xf1ff
	s_delay_alu instid0(VALU_DEP_2)
	v_add_co_ci_u32_e64 v36, s0, s9, v28, s0
	s_clause 0x2
	global_load_b128 v[27:30], v[35:36], off offset:476
	global_load_b128 v[31:34], v[35:36], off offset:492
	global_load_b64 v[35:36], v[35:36], off offset:508
	s_wait_loadcnt 0x2
	v_lshrrev_b32_e32 v42, 16, v27
	v_lshrrev_b32_e32 v43, 16, v28
	s_wait_loadcnt 0x0
	v_lshrrev_b32_e32 v47, 16, v36
	v_lshrrev_b32_e32 v44, 16, v29
	;; [unrolled: 1-line block ×4, first 2 shown]
	v_mul_f16_e32 v53, v3, v42
	v_mul_f16_e32 v52, v10, v47
	;; [unrolled: 1-line block ×4, first 2 shown]
	v_lshrrev_b32_e32 v45, 16, v30
	v_lshrrev_b32_e32 v49, 16, v33
	v_mul_f16_e32 v54, v11, v51
	v_mul_f16_e32 v55, v16, v43
	;; [unrolled: 1-line block ×7, first 2 shown]
	v_fmac_f16_e32 v52, v7, v36
	v_fmac_f16_e32 v53, v26, v27
	v_fma_f16 v3, v3, v27, -v42
	v_fma_f16 v7, v10, v36, -v47
	v_lshrrev_b32_e32 v46, 16, v31
	v_lshrrev_b32_e32 v48, 16, v32
	v_mul_f16_e32 v50, v0, v50
	v_mul_f16_e32 v58, v13, v49
	;; [unrolled: 1-line block ×4, first 2 shown]
	v_fmac_f16_e32 v54, v1, v35
	v_fmac_f16_e32 v55, v23, v28
	v_fma_f16 v1, v16, v28, -v43
	v_fma_f16 v10, v11, v35, -v51
	v_fmac_f16_e32 v56, v0, v34
	v_fma_f16 v0, v17, v29, -v44
	v_sub_f16_e32 v17, v3, v7
	v_add_f16_e32 v28, v3, v7
	v_add_f16_e32 v3, v2, v3
	;; [unrolled: 1-line block ×3, first 2 shown]
	v_mul_f16_e32 v49, v20, v49
	v_mul_f16_e32 v60, v12, v48
	;; [unrolled: 1-line block ×5, first 2 shown]
	v_fmac_f16_e32 v57, v25, v29
	v_fma_f16 v11, v37, v34, -v50
	v_fmac_f16_e32 v58, v20, v33
	v_fmac_f16_e32 v59, v22, v30
	v_fma_f16 v14, v14, v30, -v45
	v_sub_f16_e32 v20, v1, v10
	v_add_f16_e32 v30, v1, v10
	v_add_f16_e32 v1, v3, v1
	;; [unrolled: 1-line block ×3, first 2 shown]
	v_fma_f16 v13, v13, v33, -v49
	v_fmac_f16_e32 v60, v21, v32
	v_fmac_f16_e32 v61, v19, v31
	v_add_f16_e32 v16, v53, v52
	v_sub_f16_e32 v29, v53, v52
	v_fma_f16 v15, v15, v31, -v46
	v_fma_f16 v12, v12, v32, -v48
	v_sub_f16_e32 v22, v0, v11
	v_add_f16_e32 v32, v0, v11
	v_add_f16_e32 v0, v1, v0
	;; [unrolled: 1-line block ×6, first 2 shown]
	v_sub_f16_e32 v25, v14, v13
	v_add_f16_e32 v26, v61, v60
	v_sub_f16_e32 v31, v55, v54
	v_sub_f16_e32 v33, v57, v56
	;; [unrolled: 1-line block ×4, first 2 shown]
	v_mul_f16_e32 v43, 0xb08e, v16
	v_mul_f16_e32 v48, 0xbbeb, v29
	v_mul_f16_e32 v62, 0xb93d, v16
	v_mul_f16_e32 v67, 0xba0c, v29
	v_mul_f16_e32 v72, 0xbbad, v16
	v_mul_f16_e32 v77, 0xb482, v29
	v_mul_f16_e32 v82, 0xbb47, v17
	v_mul_f16_e32 v87, 0xbb47, v29
	v_sub_f16_e32 v27, v15, v12
	v_mul_f16_e32 v92, 0xb853, v17
	v_mul_f16_e32 v29, 0xb853, v29
	v_add_f16_e32 v0, v0, v14
	v_add_f16_e32 v1, v1, v59
	;; [unrolled: 1-line block ×4, first 2 shown]
	v_mul_f16_e32 v44, 0xbbad, v19
	v_mul_f16_e32 v45, 0x36a6, v21
	;; [unrolled: 1-line block ×34, first 2 shown]
	v_fmamk_f16 v42, v17, 0x3beb, v43
	v_fmamk_f16 v100, v28, 0xb08e, v48
	v_fmamk_f16 v105, v17, 0x3a0c, v62
	v_fmamk_f16 v110, v28, 0xb93d, v67
	v_fmamk_f16 v115, v17, 0x3482, v72
	v_fmamk_f16 v120, v28, 0xbbad, v77
	v_fmac_f16_e32 v72, 0xb482, v17
	v_fma_f16 v77, v28, 0xbbad, -v77
	v_fmac_f16_e32 v62, 0xba0c, v17
	v_fmac_f16_e32 v43, 0xbbeb, v17
	v_fma_f16 v17, v28, 0xb08e, -v48
	v_fmamk_f16 v48, v16, 0x36a6, v82
	v_fma_f16 v125, v28, 0x36a6, -v87
	v_fma_f16 v67, v28, 0xb93d, -v67
	;; [unrolled: 1-line block ×3, first 2 shown]
	v_fmac_f16_e32 v87, 0x36a6, v28
	v_mul_f16_e32 v84, 0x3482, v22
	v_mul_f16_e32 v86, 0x3853, v27
	;; [unrolled: 1-line block ×3, first 2 shown]
	v_fma_f16 v130, 0x3abb, v16, v92
	v_fma_f16 v135, v28, 0x3abb, -v29
	v_add_f16_e32 v0, v0, v15
	v_add_f16_e32 v1, v1, v61
	v_mul_f16_e32 v94, 0xbbeb, v22
	v_mul_f16_e32 v95, 0xba0c, v25
	;; [unrolled: 1-line block ×3, first 2 shown]
	v_fmamk_f16 v55, v20, 0xb482, v44
	v_fmamk_f16 v97, v22, 0xbb47, v45
	;; [unrolled: 1-line block ×24, first 2 shown]
	v_fmac_f16_e32 v73, 0x3853, v20
	v_fmac_f16_e32 v74, 0xba0c, v22
	v_fmac_f16_e32 v75, 0x3b47, v25
	v_fmac_f16_e32 v76, 0xbbeb, v27
	v_fma_f16 v78, v30, 0x3abb, -v78
	v_fma_f16 v79, v32, 0xb93d, -v79
	v_fma_f16 v80, v34, 0x36a6, -v80
	v_fma_f16 v81, v36, 0xb08e, -v81
	v_fmac_f16_e32 v63, 0x3beb, v20
	v_fmac_f16_e32 v64, 0xb853, v22
	v_fmac_f16_e32 v65, 0xb482, v25
	v_fmac_f16_e32 v66, 0x3b47, v27
	v_fma_f16 v68, v30, 0xb08e, -v68
	v_fma_f16 v69, v32, 0x3abb, -v69
	v_fma_f16 v70, v34, 0xbbad, -v70
	v_fma_f16 v71, v36, 0x36a6, -v71
	;; [unrolled: 8-line block ×3, first 2 shown]
	v_fmamk_f16 v49, v19, 0xb93d, v83
	v_fmamk_f16 v51, v23, 0xb08e, v85
	v_fma_f16 v126, v30, 0xb93d, -v88
	v_fma_f16 v127, v32, 0xbbad, -v89
	;; [unrolled: 1-line block ×10, first 2 shown]
	v_fmac_f16_e32 v88, 0xb93d, v30
	v_fmac_f16_e32 v89, 0xbbad, v32
	;; [unrolled: 1-line block ×4, first 2 shown]
	v_fma_f16 v16, v16, 0x3abb, -v92
	v_fmac_f16_e32 v29, 0x3abb, v28
	v_fmac_f16_e32 v31, 0x36a6, v30
	;; [unrolled: 1-line block ×5, first 2 shown]
	v_add_f16_e32 v28, v18, v42
	v_add_f16_e32 v30, v2, v100
	;; [unrolled: 1-line block ×16, first 2 shown]
	v_fmamk_f16 v50, v21, 0xbbad, v84
	v_fmamk_f16 v53, v26, 0x3abb, v86
	v_fma_f16 v131, 0x36a6, v19, v93
	v_fma_f16 v82, v21, 0xbbad, -v84
	v_fma_f16 v84, v26, 0x3abb, -v86
	v_add_f16_e64 v86, v18, v130
	v_add_f16_e64 v92, v2, v135
	v_add_f16_e32 v0, v0, v12
	v_add_f16_e32 v1, v1, v60
	v_fma_f16 v19, v19, 0x36a6, -v93
	v_add_f16_e32 v16, v18, v16
	v_add_f16_e32 v2, v2, v29
	;; [unrolled: 1-line block ×18, first 2 shown]
	v_fma_f16 v132, 0xb08e, v21, v94
	v_add_f16_e64 v48, v131, v86
	v_add_f16_e64 v49, v136, v92
	v_add_f16_e32 v0, v0, v13
	v_add_f16_e32 v1, v1, v58
	v_fma_f16 v21, v21, 0xb08e, -v94
	v_add_f16_e32 v15, v19, v16
	v_add_f16_e32 v2, v31, v2
	;; [unrolled: 1-line block ×18, first 2 shown]
	v_fma_f16 v133, 0xb93d, v23, v95
	v_add_f16_e64 v43, v132, v48
	v_add_f16_e64 v44, v137, v49
	v_add_f16_e32 v0, v0, v11
	v_add_f16_e32 v1, v1, v56
	v_fma_f16 v23, v23, 0xb93d, -v95
	v_add_f16_e32 v14, v21, v15
	v_add_f16_e32 v2, v33, v2
	;; [unrolled: 1-line block ×8, first 2 shown]
	v_add_f16_e64 v22, v128, v22
	v_add_f16_e32 v15, v98, v16
	v_add_f16_e32 v16, v103, v18
	;; [unrolled: 1-line block ×9, first 2 shown]
	v_fma_f16 v134, 0xbbad, v26, v96
	v_add_f16_e64 v25, v133, v43
	v_add_f16_e64 v34, v138, v44
	v_add_f16_e32 v0, v0, v10
	v_add_f16_e32 v1, v1, v54
	v_fma_f16 v26, v26, 0xbbad, -v96
	v_add_f16_e32 v13, v23, v14
	v_add_f16_e32 v2, v35, v2
	;; [unrolled: 1-line block ×7, first 2 shown]
	v_add_f16_e64 v22, v129, v22
	v_add_f16_e32 v14, v99, v15
	v_add_f16_e32 v15, v104, v16
	;; [unrolled: 1-line block ×10, first 2 shown]
	v_add_f16_e64 v25, v134, v25
	v_add_f16_e64 v27, v139, v34
	v_add_f16_e32 v0, v0, v7
	v_add_f16_e32 v1, v1, v52
	;; [unrolled: 1-line block ×4, first 2 shown]
	v_pack_b32_f16 v13, v22, v20
	v_pack_b32_f16 v17, v17, v31
	;; [unrolled: 1-line block ×11, first 2 shown]
	ds_store_2addr_b32 v38, v13, v17 offset0:16 offset1:152
	ds_store_2addr_b32 v39, v20, v22 offset0:32 offset1:168
	;; [unrolled: 1-line block ×4, first 2 shown]
	ds_store_2addr_b32 v24, v0, v10 offset1:136
	ds_store_b32 v24, v2 offset:5440
.LBB0_19:
	s_wait_alu 0xfffe
	s_or_b32 exec_lo, exec_lo, s1
	global_wb scope:SCOPE_SE
	s_wait_dscnt 0x0
	s_barrier_signal -1
	s_barrier_wait -1
	global_inv scope:SCOPE_SE
	ds_load_b32 v12, v24
	v_lshlrev_b32_e32 v0, 2, v6
	s_mov_b32 s1, exec_lo
                                        ; implicit-def: $vgpr11
                                        ; implicit-def: $vgpr10
                                        ; implicit-def: $vgpr3
	s_delay_alu instid0(VALU_DEP_1)
	v_sub_nc_u32_e32 v2, 0, v0
                                        ; implicit-def: $vgpr0_vgpr1
	v_cmpx_ne_u32_e32 0, v6
	s_wait_alu 0xfffe
	s_xor_b32 s1, exec_lo, s1
	s_cbranch_execz .LBB0_21
; %bb.20:
	v_mov_b32_e32 v7, 0
	s_delay_alu instid0(VALU_DEP_1) | instskip(NEXT) | instid1(VALU_DEP_1)
	v_lshlrev_b64_e32 v[0:1], 2, v[6:7]
	v_add_co_u32 v0, s0, s8, v0
	s_wait_alu 0xf1ff
	s_delay_alu instid0(VALU_DEP_2)
	v_add_co_ci_u32_e64 v1, s0, s9, v1, s0
	global_load_b32 v0, v[0:1], off offset:5916
	ds_load_b32 v1, v2 offset:5984
	s_wait_dscnt 0x0
	v_pk_add_f16 v3, v12, v1 neg_lo:[0,1] neg_hi:[0,1]
	v_pk_add_f16 v1, v1, v12
	s_delay_alu instid0(VALU_DEP_1) | instskip(SKIP_1) | instid1(VALU_DEP_2)
	v_bfi_b32 v10, 0xffff, v3, v1
	v_bfi_b32 v1, 0xffff, v1, v3
	v_pk_mul_f16 v10, v10, 0.5 op_sel_hi:[1,0]
	s_delay_alu instid0(VALU_DEP_2) | instskip(SKIP_1) | instid1(VALU_DEP_2)
	v_pk_mul_f16 v11, v1, 0.5 op_sel_hi:[1,0]
	s_wait_loadcnt 0x0
	v_pk_mul_f16 v3, v0, v10 op_sel:[1,0]
	v_pk_mul_f16 v0, v0, v10 op_sel_hi:[0,1]
	s_delay_alu instid0(VALU_DEP_3) | instskip(NEXT) | instid1(VALU_DEP_3)
	v_lshrrev_b32_e32 v10, 16, v11
	v_pk_fma_f16 v1, v1, 0.5, v3 op_sel_hi:[1,0,1]
	v_lshrrev_b32_e32 v12, 16, v3
	v_sub_f16_e32 v3, v11, v3
	v_lshrrev_b32_e32 v11, 16, v0
	s_delay_alu instid0(VALU_DEP_4) | instskip(SKIP_2) | instid1(VALU_DEP_4)
	v_pk_add_f16 v13, v1, v0 op_sel:[0,1] op_sel_hi:[1,0]
	v_pk_add_f16 v1, v1, v0 op_sel:[0,1] op_sel_hi:[1,0] neg_lo:[0,1] neg_hi:[0,1]
	v_sub_f16_e32 v12, v12, v10
	v_sub_f16_e32 v10, v3, v11
	s_delay_alu instid0(VALU_DEP_3) | instskip(NEXT) | instid1(VALU_DEP_3)
	v_bfi_b32 v11, 0xffff, v13, v1
	v_sub_f16_e32 v3, v12, v0
	v_dual_mov_b32 v0, v6 :: v_dual_mov_b32 v1, v7
                                        ; implicit-def: $vgpr12
.LBB0_21:
	s_wait_alu 0xfffe
	s_and_not1_saveexec_b32 s0, s1
	s_cbranch_execz .LBB0_23
; %bb.22:
	v_mov_b32_e32 v3, 0
	s_wait_dscnt 0x0
	s_wait_alu 0xfffe
	v_alignbit_b32 v1, s0, v12, 16
	v_lshrrev_b32_e32 v7, 16, v12
	ds_load_u16 v0, v3 offset:2994
	v_pk_add_f16 v11, v1, v12
	v_sub_f16_e32 v10, v12, v7
	s_delay_alu instid0(VALU_DEP_2)
	v_pack_b32_f16 v11, v11, 0
	s_wait_dscnt 0x0
	v_xor_b32_e32 v7, 0x8000, v0
	v_mov_b32_e32 v0, 0
	v_mov_b32_e32 v1, 0
	ds_store_b16 v3, v7 offset:2994
.LBB0_23:
	s_wait_alu 0xfffe
	s_or_b32 exec_lo, exec_lo, s0
	v_lshlrev_b64_e32 v[0:1], 2, v[0:1]
	s_add_nc_u64 s[0:1], s[8:9], 0x171c
	s_wait_alu 0xfffe
	s_delay_alu instid0(VALU_DEP_1) | instskip(SKIP_1) | instid1(VALU_DEP_2)
	v_add_co_u32 v0, s0, s0, v0
	s_wait_alu 0xf1ff
	v_add_co_ci_u32_e64 v1, s0, s1, v1, s0
	global_load_b32 v7, v[0:1], off offset:748
	s_wait_dscnt 0x0
	s_clause 0x1
	global_load_b32 v12, v[0:1], off offset:1496
	global_load_b32 v0, v[0:1], off offset:2244
	ds_store_b16 v2, v3 offset:5986
	ds_store_b32 v24, v11
	ds_store_b16 v2, v10 offset:5984
	ds_load_b32 v1, v24 offset:748
	ds_load_b32 v3, v2 offset:5236
	s_wait_dscnt 0x0
	v_pk_add_f16 v10, v1, v3 neg_lo:[0,1] neg_hi:[0,1]
	v_pk_add_f16 v1, v1, v3
	s_delay_alu instid0(VALU_DEP_1) | instskip(SKIP_1) | instid1(VALU_DEP_2)
	v_bfi_b32 v3, 0xffff, v10, v1
	v_bfi_b32 v1, 0xffff, v1, v10
	v_pk_mul_f16 v3, v3, 0.5 op_sel_hi:[1,0]
	s_delay_alu instid0(VALU_DEP_2) | instskip(NEXT) | instid1(VALU_DEP_1)
	v_pk_mul_f16 v10, v1, 0.5 op_sel_hi:[1,0]
	v_lshrrev_b32_e32 v13, 16, v10
	s_wait_loadcnt 0x2
	s_delay_alu instid0(VALU_DEP_3) | instskip(SKIP_1) | instid1(VALU_DEP_2)
	v_pk_mul_f16 v11, v7, v3 op_sel:[1,0]
	v_pk_mul_f16 v3, v7, v3 op_sel_hi:[0,1]
	v_lshrrev_b32_e32 v7, 16, v11
	v_pk_fma_f16 v1, v1, 0.5, v11 op_sel_hi:[1,0,1]
	v_sub_f16_e32 v10, v10, v11
	s_delay_alu instid0(VALU_DEP_3) | instskip(NEXT) | instid1(VALU_DEP_3)
	v_sub_f16_e32 v7, v7, v13
	v_pk_add_f16 v11, v1, v3 op_sel:[0,1] op_sel_hi:[1,0]
	v_pk_add_f16 v1, v1, v3 op_sel:[0,1] op_sel_hi:[1,0] neg_lo:[0,1] neg_hi:[0,1]
	v_lshrrev_b32_e32 v13, 16, v3
	s_delay_alu instid0(VALU_DEP_4) | instskip(NEXT) | instid1(VALU_DEP_3)
	v_sub_f16_e32 v3, v7, v3
	v_bfi_b32 v1, 0xffff, v11, v1
	s_delay_alu instid0(VALU_DEP_3)
	v_sub_f16_e32 v7, v10, v13
	ds_store_b16 v2, v3 offset:5238
	ds_store_b32 v24, v1 offset:748
	ds_store_b16 v2, v7 offset:5236
	ds_load_b32 v1, v24 offset:1496
	ds_load_b32 v3, v2 offset:4488
	s_wait_dscnt 0x0
	v_pk_add_f16 v7, v1, v3 neg_lo:[0,1] neg_hi:[0,1]
	v_pk_add_f16 v1, v1, v3
	s_delay_alu instid0(VALU_DEP_1) | instskip(SKIP_1) | instid1(VALU_DEP_2)
	v_bfi_b32 v3, 0xffff, v7, v1
	v_bfi_b32 v1, 0xffff, v1, v7
	v_pk_mul_f16 v3, v3, 0.5 op_sel_hi:[1,0]
	s_delay_alu instid0(VALU_DEP_2) | instskip(SKIP_1) | instid1(VALU_DEP_2)
	v_pk_mul_f16 v1, v1, 0.5 op_sel_hi:[1,0]
	s_wait_loadcnt 0x1
	v_pk_mul_f16 v10, v12, v3 op_sel_hi:[0,1]
	s_delay_alu instid0(VALU_DEP_2) | instskip(SKIP_2) | instid1(VALU_DEP_3)
	v_pk_fma_f16 v7, v12, v3, v1 op_sel:[1,0,0]
	v_pk_fma_f16 v11, v12, v3, v1 op_sel:[1,0,0] neg_lo:[1,0,0] neg_hi:[1,0,0]
	v_pk_fma_f16 v1, v12, v3, v1 op_sel:[1,0,0] neg_lo:[0,0,1] neg_hi:[0,0,1]
	v_pk_add_f16 v3, v7, v10 op_sel:[0,1] op_sel_hi:[1,0]
	v_pk_add_f16 v7, v7, v10 op_sel:[0,1] op_sel_hi:[1,0] neg_lo:[0,1] neg_hi:[0,1]
	s_delay_alu instid0(VALU_DEP_4) | instskip(NEXT) | instid1(VALU_DEP_4)
	v_pk_add_f16 v11, v11, v10 op_sel:[0,1] op_sel_hi:[1,0] neg_lo:[0,1] neg_hi:[0,1]
	v_pk_add_f16 v1, v1, v10 op_sel:[0,1] op_sel_hi:[1,0] neg_lo:[0,1] neg_hi:[0,1]
	s_delay_alu instid0(VALU_DEP_3) | instskip(NEXT) | instid1(VALU_DEP_2)
	v_bfi_b32 v3, 0xffff, v3, v7
	v_bfi_b32 v1, 0xffff, v11, v1
	ds_store_b32 v24, v3 offset:1496
	ds_store_b32 v2, v1 offset:4488
	ds_load_b32 v1, v24 offset:2244
	ds_load_b32 v3, v2 offset:3740
	s_wait_dscnt 0x0
	v_pk_add_f16 v7, v1, v3 neg_lo:[0,1] neg_hi:[0,1]
	v_pk_add_f16 v1, v1, v3
	s_delay_alu instid0(VALU_DEP_1) | instskip(SKIP_1) | instid1(VALU_DEP_2)
	v_bfi_b32 v3, 0xffff, v7, v1
	v_bfi_b32 v1, 0xffff, v1, v7
	v_pk_mul_f16 v3, v3, 0.5 op_sel_hi:[1,0]
	s_delay_alu instid0(VALU_DEP_2) | instskip(SKIP_1) | instid1(VALU_DEP_2)
	v_pk_mul_f16 v1, v1, 0.5 op_sel_hi:[1,0]
	s_wait_loadcnt 0x0
	v_pk_mul_f16 v10, v0, v3 op_sel_hi:[0,1]
	s_delay_alu instid0(VALU_DEP_2) | instskip(SKIP_2) | instid1(VALU_DEP_3)
	v_pk_fma_f16 v7, v0, v3, v1 op_sel:[1,0,0]
	v_pk_fma_f16 v11, v0, v3, v1 op_sel:[1,0,0] neg_lo:[1,0,0] neg_hi:[1,0,0]
	v_pk_fma_f16 v0, v0, v3, v1 op_sel:[1,0,0] neg_lo:[0,0,1] neg_hi:[0,0,1]
	v_pk_add_f16 v1, v7, v10 op_sel:[0,1] op_sel_hi:[1,0]
	v_pk_add_f16 v3, v7, v10 op_sel:[0,1] op_sel_hi:[1,0] neg_lo:[0,1] neg_hi:[0,1]
	s_delay_alu instid0(VALU_DEP_4) | instskip(NEXT) | instid1(VALU_DEP_4)
	v_pk_add_f16 v7, v11, v10 op_sel:[0,1] op_sel_hi:[1,0] neg_lo:[0,1] neg_hi:[0,1]
	v_pk_add_f16 v0, v0, v10 op_sel:[0,1] op_sel_hi:[1,0] neg_lo:[0,1] neg_hi:[0,1]
	s_delay_alu instid0(VALU_DEP_3) | instskip(NEXT) | instid1(VALU_DEP_2)
	v_bfi_b32 v1, 0xffff, v1, v3
	v_bfi_b32 v0, 0xffff, v7, v0
	ds_store_b32 v24, v1 offset:2244
	ds_store_b32 v2, v0 offset:3740
	global_wb scope:SCOPE_SE
	s_wait_dscnt 0x0
	s_barrier_signal -1
	s_barrier_wait -1
	global_inv scope:SCOPE_SE
	s_and_saveexec_b32 s0, vcc_lo
	s_cbranch_execz .LBB0_26
; %bb.24:
	v_mul_lo_u32 v2, s3, v8
	v_mul_lo_u32 v3, s2, v9
	v_mad_co_u64_u32 v[0:1], null, s2, v8, 0
	v_mov_b32_e32 v7, 0
	v_lshl_add_u32 v24, v6, 2, 0
	v_add_nc_u32_e32 v26, 0x51d, v6
	ds_load_2addr_b32 v[10:11], v24 offset1:187
	v_add3_u32 v1, v1, v3, v2
	v_lshlrev_b64_e32 v[2:3], 2, v[4:5]
	v_add_nc_u32_e32 v4, 0xbb, v6
	v_lshlrev_b64_e32 v[12:13], 2, v[6:7]
	v_dual_mov_b32 v5, v7 :: v_dual_add_nc_u32 v8, 0x176, v6
	v_lshlrev_b64_e32 v[0:1], 2, v[0:1]
	v_dual_mov_b32 v9, v7 :: v_dual_add_nc_u32 v14, 0x500, v24
	v_dual_mov_b32 v17, v7 :: v_dual_add_nc_u32 v16, 0x2ec, v6
	s_delay_alu instid0(VALU_DEP_4) | instskip(NEXT) | instid1(VALU_DEP_4)
	v_lshlrev_b64_e32 v[4:5], 2, v[4:5]
	v_add_co_u32 v0, vcc_lo, s6, v0
	s_wait_alu 0xfffd
	v_add_co_ci_u32_e32 v1, vcc_lo, s7, v1, vcc_lo
	v_dual_mov_b32 v21, v7 :: v_dual_add_nc_u32 v18, 0xb00, v24
	s_delay_alu instid0(VALU_DEP_3) | instskip(SKIP_1) | instid1(VALU_DEP_3)
	v_add_co_u32 v0, vcc_lo, v0, v2
	s_wait_alu 0xfffd
	v_add_co_ci_u32_e32 v1, vcc_lo, v1, v3, vcc_lo
	v_lshlrev_b64_e32 v[2:3], 2, v[8:9]
	s_delay_alu instid0(VALU_DEP_3) | instskip(SKIP_1) | instid1(VALU_DEP_3)
	v_add_co_u32 v8, vcc_lo, v0, v12
	s_wait_alu 0xfffd
	v_add_co_ci_u32_e32 v9, vcc_lo, v1, v13, vcc_lo
	v_dual_mov_b32 v13, v7 :: v_dual_add_nc_u32 v12, 0x231, v6
	v_add_co_u32 v4, vcc_lo, v0, v4
	v_dual_mov_b32 v23, v7 :: v_dual_add_nc_u32 v20, 0x3a7, v6
	s_delay_alu instid0(VALU_DEP_3)
	v_lshlrev_b64_e32 v[12:13], 2, v[12:13]
	s_wait_alu 0xfffd
	v_add_co_ci_u32_e32 v5, vcc_lo, v1, v5, vcc_lo
	v_add_co_u32 v2, vcc_lo, v0, v2
	v_lshlrev_b64_e32 v[16:17], 2, v[16:17]
	v_dual_mov_b32 v27, v7 :: v_dual_add_nc_u32 v22, 0x462, v6
	s_wait_alu 0xfffd
	v_add_co_ci_u32_e32 v3, vcc_lo, v1, v3, vcc_lo
	v_add_co_u32 v12, vcc_lo, v0, v12
	v_lshlrev_b64_e32 v[20:21], 2, v[20:21]
	v_add_nc_u32_e32 v24, 0x1100, v24
	ds_load_2addr_b32 v[14:15], v14 offset0:54 offset1:241
	s_wait_alu 0xfffd
	v_add_co_ci_u32_e32 v13, vcc_lo, v1, v13, vcc_lo
	v_add_co_u32 v16, vcc_lo, v0, v16
	v_lshlrev_b64_e32 v[22:23], 2, v[22:23]
	ds_load_2addr_b32 v[18:19], v18 offset0:44 offset1:231
	s_wait_alu 0xfffd
	v_add_co_ci_u32_e32 v17, vcc_lo, v1, v17, vcc_lo
	ds_load_2addr_b32 v[24:25], v24 offset0:34 offset1:221
	v_add_co_u32 v20, vcc_lo, v0, v20
	v_lshlrev_b64_e32 v[26:27], 2, v[26:27]
	s_wait_alu 0xfffd
	v_add_co_ci_u32_e32 v21, vcc_lo, v1, v21, vcc_lo
	v_add_co_u32 v22, vcc_lo, v0, v22
	s_wait_alu 0xfffd
	v_add_co_ci_u32_e32 v23, vcc_lo, v1, v23, vcc_lo
	v_add_co_u32 v26, vcc_lo, v0, v26
	s_wait_alu 0xfffd
	v_add_co_ci_u32_e32 v27, vcc_lo, v1, v27, vcc_lo
	v_cmp_eq_u32_e32 vcc_lo, 0xba, v6
	s_wait_dscnt 0x3
	s_clause 0x1
	global_store_b32 v[8:9], v10, off
	global_store_b32 v[4:5], v11, off
	s_wait_dscnt 0x2
	s_clause 0x1
	global_store_b32 v[2:3], v14, off
	global_store_b32 v[12:13], v15, off
	;; [unrolled: 4-line block ×4, first 2 shown]
	s_and_b32 exec_lo, exec_lo, vcc_lo
	s_cbranch_execz .LBB0_26
; %bb.25:
	ds_load_b32 v2, v7 offset:5984
	s_wait_dscnt 0x0
	global_store_b32 v[0:1], v2, off offset:5984
.LBB0_26:
	s_nop 0
	s_sendmsg sendmsg(MSG_DEALLOC_VGPRS)
	s_endpgm
	.section	.rodata,"a",@progbits
	.p2align	6, 0x0
	.amdhsa_kernel fft_rtc_fwd_len1496_factors_17_8_11_wgs_187_tpt_187_halfLds_half_op_CI_CI_unitstride_sbrr_R2C_dirReg
		.amdhsa_group_segment_fixed_size 0
		.amdhsa_private_segment_fixed_size 0
		.amdhsa_kernarg_size 104
		.amdhsa_user_sgpr_count 2
		.amdhsa_user_sgpr_dispatch_ptr 0
		.amdhsa_user_sgpr_queue_ptr 0
		.amdhsa_user_sgpr_kernarg_segment_ptr 1
		.amdhsa_user_sgpr_dispatch_id 0
		.amdhsa_user_sgpr_private_segment_size 0
		.amdhsa_wavefront_size32 1
		.amdhsa_uses_dynamic_stack 0
		.amdhsa_enable_private_segment 0
		.amdhsa_system_sgpr_workgroup_id_x 1
		.amdhsa_system_sgpr_workgroup_id_y 0
		.amdhsa_system_sgpr_workgroup_id_z 0
		.amdhsa_system_sgpr_workgroup_info 0
		.amdhsa_system_vgpr_workitem_id 0
		.amdhsa_next_free_vgpr 151
		.amdhsa_next_free_sgpr 39
		.amdhsa_reserve_vcc 1
		.amdhsa_float_round_mode_32 0
		.amdhsa_float_round_mode_16_64 0
		.amdhsa_float_denorm_mode_32 3
		.amdhsa_float_denorm_mode_16_64 3
		.amdhsa_fp16_overflow 0
		.amdhsa_workgroup_processor_mode 1
		.amdhsa_memory_ordered 1
		.amdhsa_forward_progress 0
		.amdhsa_round_robin_scheduling 0
		.amdhsa_exception_fp_ieee_invalid_op 0
		.amdhsa_exception_fp_denorm_src 0
		.amdhsa_exception_fp_ieee_div_zero 0
		.amdhsa_exception_fp_ieee_overflow 0
		.amdhsa_exception_fp_ieee_underflow 0
		.amdhsa_exception_fp_ieee_inexact 0
		.amdhsa_exception_int_div_zero 0
	.end_amdhsa_kernel
	.text
.Lfunc_end0:
	.size	fft_rtc_fwd_len1496_factors_17_8_11_wgs_187_tpt_187_halfLds_half_op_CI_CI_unitstride_sbrr_R2C_dirReg, .Lfunc_end0-fft_rtc_fwd_len1496_factors_17_8_11_wgs_187_tpt_187_halfLds_half_op_CI_CI_unitstride_sbrr_R2C_dirReg
                                        ; -- End function
	.section	.AMDGPU.csdata,"",@progbits
; Kernel info:
; codeLenInByte = 13012
; NumSgprs: 41
; NumVgprs: 151
; ScratchSize: 0
; MemoryBound: 0
; FloatMode: 240
; IeeeMode: 1
; LDSByteSize: 0 bytes/workgroup (compile time only)
; SGPRBlocks: 5
; VGPRBlocks: 18
; NumSGPRsForWavesPerEU: 41
; NumVGPRsForWavesPerEU: 151
; Occupancy: 9
; WaveLimiterHint : 1
; COMPUTE_PGM_RSRC2:SCRATCH_EN: 0
; COMPUTE_PGM_RSRC2:USER_SGPR: 2
; COMPUTE_PGM_RSRC2:TRAP_HANDLER: 0
; COMPUTE_PGM_RSRC2:TGID_X_EN: 1
; COMPUTE_PGM_RSRC2:TGID_Y_EN: 0
; COMPUTE_PGM_RSRC2:TGID_Z_EN: 0
; COMPUTE_PGM_RSRC2:TIDIG_COMP_CNT: 0
	.text
	.p2alignl 7, 3214868480
	.fill 96, 4, 3214868480
	.type	__hip_cuid_978261ecaf934285,@object ; @__hip_cuid_978261ecaf934285
	.section	.bss,"aw",@nobits
	.globl	__hip_cuid_978261ecaf934285
__hip_cuid_978261ecaf934285:
	.byte	0                               ; 0x0
	.size	__hip_cuid_978261ecaf934285, 1

	.ident	"AMD clang version 19.0.0git (https://github.com/RadeonOpenCompute/llvm-project roc-6.4.0 25133 c7fe45cf4b819c5991fe208aaa96edf142730f1d)"
	.section	".note.GNU-stack","",@progbits
	.addrsig
	.addrsig_sym __hip_cuid_978261ecaf934285
	.amdgpu_metadata
---
amdhsa.kernels:
  - .args:
      - .actual_access:  read_only
        .address_space:  global
        .offset:         0
        .size:           8
        .value_kind:     global_buffer
      - .offset:         8
        .size:           8
        .value_kind:     by_value
      - .actual_access:  read_only
        .address_space:  global
        .offset:         16
        .size:           8
        .value_kind:     global_buffer
      - .actual_access:  read_only
        .address_space:  global
        .offset:         24
        .size:           8
        .value_kind:     global_buffer
      - .actual_access:  read_only
        .address_space:  global
        .offset:         32
        .size:           8
        .value_kind:     global_buffer
      - .offset:         40
        .size:           8
        .value_kind:     by_value
      - .actual_access:  read_only
        .address_space:  global
        .offset:         48
        .size:           8
        .value_kind:     global_buffer
      - .actual_access:  read_only
        .address_space:  global
        .offset:         56
        .size:           8
        .value_kind:     global_buffer
      - .offset:         64
        .size:           4
        .value_kind:     by_value
      - .actual_access:  read_only
        .address_space:  global
        .offset:         72
        .size:           8
        .value_kind:     global_buffer
      - .actual_access:  read_only
        .address_space:  global
        .offset:         80
        .size:           8
        .value_kind:     global_buffer
      - .actual_access:  read_only
        .address_space:  global
        .offset:         88
        .size:           8
        .value_kind:     global_buffer
      - .actual_access:  write_only
        .address_space:  global
        .offset:         96
        .size:           8
        .value_kind:     global_buffer
    .group_segment_fixed_size: 0
    .kernarg_segment_align: 8
    .kernarg_segment_size: 104
    .language:       OpenCL C
    .language_version:
      - 2
      - 0
    .max_flat_workgroup_size: 187
    .name:           fft_rtc_fwd_len1496_factors_17_8_11_wgs_187_tpt_187_halfLds_half_op_CI_CI_unitstride_sbrr_R2C_dirReg
    .private_segment_fixed_size: 0
    .sgpr_count:     41
    .sgpr_spill_count: 0
    .symbol:         fft_rtc_fwd_len1496_factors_17_8_11_wgs_187_tpt_187_halfLds_half_op_CI_CI_unitstride_sbrr_R2C_dirReg.kd
    .uniform_work_group_size: 1
    .uses_dynamic_stack: false
    .vgpr_count:     151
    .vgpr_spill_count: 0
    .wavefront_size: 32
    .workgroup_processor_mode: 1
amdhsa.target:   amdgcn-amd-amdhsa--gfx1201
amdhsa.version:
  - 1
  - 2
...

	.end_amdgpu_metadata
